;; amdgpu-corpus repo=ROCm/rocFFT kind=compiled arch=gfx950 opt=O3
	.text
	.amdgcn_target "amdgcn-amd-amdhsa--gfx950"
	.amdhsa_code_object_version 6
	.protected	bluestein_single_fwd_len867_dim1_sp_op_CI_CI ; -- Begin function bluestein_single_fwd_len867_dim1_sp_op_CI_CI
	.globl	bluestein_single_fwd_len867_dim1_sp_op_CI_CI
	.p2align	8
	.type	bluestein_single_fwd_len867_dim1_sp_op_CI_CI,@function
bluestein_single_fwd_len867_dim1_sp_op_CI_CI: ; @bluestein_single_fwd_len867_dim1_sp_op_CI_CI
; %bb.0:
	s_load_dwordx4 s[12:15], s[0:1], 0x28
	v_mul_u32_u24_e32 v1, 0x506, v0
	v_mov_b32_e32 v85, 0
	v_add_u32_sdwa v4, s2, v1 dst_sel:DWORD dst_unused:UNUSED_PAD src0_sel:DWORD src1_sel:WORD_1
	v_mov_b32_e32 v5, v85
	s_waitcnt lgkmcnt(0)
	v_cmp_gt_u64_e32 vcc, s[12:13], v[4:5]
	s_and_saveexec_b64 s[2:3], vcc
	s_cbranch_execz .LBB0_10
; %bb.1:
	s_load_dwordx4 s[4:7], s[0:1], 0x18
	s_load_dwordx4 s[8:11], s[0:1], 0x0
	v_mov_b32_e32 v2, s14
	v_mov_b32_e32 v3, s15
	;; [unrolled: 1-line block ×3, first 2 shown]
	s_waitcnt lgkmcnt(0)
	s_load_dwordx4 s[12:15], s[4:5], 0x0
	v_mov_b32_e32 v4, 51
	v_mul_lo_u16_sdwa v1, v1, v4 dst_sel:DWORD dst_unused:UNUSED_PAD src0_sel:WORD_1 src1_sel:DWORD
	v_sub_u16_e32 v84, v0, v1
	v_accvgpr_write_b32 a95, v85            ;  Reload Reuse
	s_waitcnt lgkmcnt(0)
	v_mad_u64_u32 v[0:1], s[2:3], s14, v6, 0
	v_mov_b32_e32 v4, v1
	v_mad_u64_u32 v[4:5], s[2:3], s15, v6, v[4:5]
	v_mov_b32_e32 v1, v4
	v_mad_u64_u32 v[4:5], s[2:3], s12, v84, 0
	v_accvgpr_write_b32 a18, v6
	v_mov_b32_e32 v6, v5
	v_mad_u64_u32 v[6:7], s[2:3], s13, v84, v[6:7]
	v_mov_b32_e32 v5, v6
	v_lshl_add_u64 v[0:1], v[0:1], 3, v[2:3]
	v_lshl_add_u64 v[0:1], v[4:5], 3, v[0:1]
	v_mov_b32_e32 v36, 0x198
	global_load_dwordx2 v[2:3], v[0:1], off
	v_mad_u64_u32 v[0:1], s[2:3], s12, v36, v[0:1]
	s_mul_i32 s2, s13, 0x198
	s_nop 0
	v_add_u32_e32 v1, s2, v1
	v_mad_u64_u32 v[6:7], s[4:5], s12, v36, v[0:1]
	v_add_u32_e32 v7, s2, v7
	v_mad_u64_u32 v[8:9], s[4:5], s12, v36, v[6:7]
	v_accvgpr_write_b32 a97, v84            ;  Reload Reuse
	v_lshlrev_b32_e32 v84, 3, v84
	v_add_u32_e32 v9, s2, v9
	global_load_dwordx2 v[70:71], v84, s[8:9]
	global_load_dwordx2 v[68:69], v84, s[8:9] offset:408
	global_load_dwordx2 v[62:63], v84, s[8:9] offset:816
	;; [unrolled: 1-line block ×3, first 2 shown]
	global_load_dwordx2 v[10:11], v[0:1], off
	v_mad_u64_u32 v[0:1], s[4:5], s12, v36, v[8:9]
	v_add_u32_e32 v1, s2, v1
	global_load_dwordx2 v[12:13], v[6:7], off
	global_load_dwordx2 v[14:15], v[8:9], off
	;; [unrolled: 1-line block ×3, first 2 shown]
	v_mad_u64_u32 v[0:1], s[4:5], s12, v36, v[0:1]
	v_add_u32_e32 v1, s2, v1
	global_load_dwordx2 v[6:7], v[0:1], off
	v_mad_u64_u32 v[0:1], s[4:5], s12, v36, v[0:1]
	v_add_u32_e32 v1, s2, v1
	global_load_dwordx2 v[8:9], v[0:1], off
	global_load_dwordx2 v[66:67], v84, s[8:9] offset:1632
	v_mad_u64_u32 v[0:1], s[4:5], s12, v36, v[0:1]
	v_add_u32_e32 v1, s2, v1
	global_load_dwordx2 v[64:65], v84, s[8:9] offset:2040
	global_load_dwordx2 v[18:19], v[0:1], off
	global_load_dwordx2 v[58:59], v84, s[8:9] offset:2448
	global_load_dwordx2 v[52:53], v84, s[8:9] offset:2856
	v_mad_u64_u32 v[0:1], s[4:5], s12, v36, v[0:1]
	v_add_u32_e32 v1, s2, v1
	global_load_dwordx2 v[20:21], v[0:1], off
	v_mad_u64_u32 v[0:1], s[4:5], s12, v36, v[0:1]
	v_add_u32_e32 v1, s2, v1
	global_load_dwordx2 v[22:23], v[0:1], off
	v_mad_u64_u32 v[0:1], s[4:5], s12, v36, v[0:1]
	v_add_u32_e32 v1, s2, v1
	global_load_dwordx2 v[56:57], v84, s[8:9] offset:3264
	global_load_dwordx2 v[24:25], v[0:1], off
	global_load_dwordx2 v[54:55], v84, s[8:9] offset:3672
	global_load_dwordx2 v[48:49], v84, s[8:9] offset:4080
	v_mad_u64_u32 v[0:1], s[4:5], s12, v36, v[0:1]
	v_lshl_add_u64 v[4:5], s[8:9], 0, v[84:85]
	v_add_u32_e32 v1, s2, v1
	s_movk_i32 s3, 0x1000
	global_load_dwordx2 v[26:27], v[0:1], off
	v_add_co_u32_e32 v4, vcc, s3, v4
	v_mad_u64_u32 v[0:1], s[4:5], s12, v36, v[0:1]
	s_nop 0
	v_addc_co_u32_e32 v5, vcc, 0, v5, vcc
	v_add_u32_e32 v1, s2, v1
	global_load_dwordx2 v[50:51], v[4:5], off offset:392
	global_load_dwordx2 v[28:29], v[0:1], off
	global_load_dwordx2 v[46:47], v[4:5], off offset:800
	v_mad_u64_u32 v[0:1], s[4:5], s12, v36, v[0:1]
	v_add_u32_e32 v1, s2, v1
	global_load_dwordx2 v[30:31], v[0:1], off
	global_load_dwordx2 v[44:45], v[4:5], off offset:1208
	v_mad_u64_u32 v[0:1], s[4:5], s12, v36, v[0:1]
	v_add_u32_e32 v1, s2, v1
	;; [unrolled: 4-line block ×4, first 2 shown]
	global_load_dwordx2 v[36:37], v[0:1], off
	global_load_dwordx2 v[38:39], v[4:5], off offset:2432
	v_add_u32_e32 v85, 0x800, v84
	v_add_u32_e32 v4, 0xc00, v84
	s_load_dwordx4 s[4:7], s[6:7], 0x0
	s_mov_b32 s2, 0xbeb8f4ab
	s_mov_b32 s3, 0x3f6eb680
	;; [unrolled: 1-line block ×13, first 2 shown]
	s_waitcnt vmcnt(32)
	v_mul_f32_e32 v0, v2, v71
	v_fma_f32 v1, v3, v70, -v0
	v_mul_f32_e32 v0, v3, v71
	v_fmac_f32_e32 v0, v2, v70
	s_waitcnt vmcnt(28)
	v_mul_f32_e32 v2, v10, v69
	v_fma_f32 v3, v11, v68, -v2
	v_mul_f32_e32 v2, v11, v69
	v_fmac_f32_e32 v2, v10, v68
	ds_write2_b64 v84, v[0:1], v[2:3] offset1:51
	s_waitcnt vmcnt(27)
	v_mul_f32_e32 v0, v13, v63
	v_mul_f32_e32 v1, v12, v63
	s_waitcnt vmcnt(26)
	v_mul_f32_e32 v2, v15, v61
	v_mul_f32_e32 v3, v14, v61
	v_fmac_f32_e32 v0, v12, v62
	v_fma_f32 v1, v13, v62, -v1
	v_fmac_f32_e32 v2, v14, v60
	v_fma_f32 v3, v15, v60, -v3
	ds_write2_b64 v84, v[0:1], v[2:3] offset0:102 offset1:153
	s_waitcnt vmcnt(22)
	v_mul_f32_e32 v0, v17, v67
	v_mul_f32_e32 v1, v16, v67
	s_waitcnt vmcnt(21)
	v_mul_f32_e32 v2, v7, v65
	v_mul_f32_e32 v3, v6, v65
	v_fmac_f32_e32 v0, v16, v66
	v_fma_f32 v1, v17, v66, -v1
	v_fmac_f32_e32 v2, v6, v64
	v_fma_f32 v3, v7, v64, -v3
	ds_write2_b64 v84, v[0:1], v[2:3] offset0:204 offset1:255
	;; [unrolled: 11-line block ×5, first 2 shown]
	s_waitcnt vmcnt(8)
	v_mul_f32_e32 v0, v29, v47
	v_mul_f32_e32 v1, v28, v47
	s_waitcnt vmcnt(6)
	v_mul_f32_e32 v2, v31, v45
	v_mul_f32_e32 v3, v30, v45
	v_mov_b32_e32 v12, v4
	v_fmac_f32_e32 v0, v28, v46
	v_fma_f32 v1, v29, v46, -v1
	v_fmac_f32_e32 v2, v30, v44
	v_fma_f32 v3, v31, v44, -v3
	v_add_u32_e32 v4, 0x1000, v84
	ds_write2_b64 v4, v[0:1], v[2:3] offset0:100 offset1:151
	s_waitcnt vmcnt(4)
	v_mul_f32_e32 v0, v33, v43
	v_mul_f32_e32 v1, v32, v43
	s_waitcnt vmcnt(2)
	v_mul_f32_e32 v2, v35, v41
	v_mul_f32_e32 v3, v34, v41
	v_fmac_f32_e32 v0, v32, v42
	v_fma_f32 v1, v33, v42, -v1
	v_fmac_f32_e32 v2, v34, v40
	v_fma_f32 v3, v35, v40, -v3
	ds_write2_b64 v4, v[0:1], v[2:3] offset0:202 offset1:253
	s_waitcnt vmcnt(0)
	v_mul_f32_e32 v0, v37, v39
	v_mul_f32_e32 v1, v36, v39
	v_accvgpr_write_b32 a20, v56
	v_accvgpr_write_b32 a16, v54
	v_fmac_f32_e32 v0, v36, v38
	v_fma_f32 v1, v37, v38, -v1
	v_accvgpr_write_b32 a21, v57
	v_accvgpr_write_b32 a17, v55
	v_mov_b32_e32 v2, v4
	ds_write_b64 v84, v[0:1] offset:6528
	s_waitcnt lgkmcnt(0)
	; wave barrier
	s_waitcnt lgkmcnt(0)
	ds_read2_b64 v[4:7], v85 offset0:50 offset1:101
	ds_read2_b64 v[8:11], v12 offset0:126 offset1:177
	v_accvgpr_write_b32 a36, v12
	ds_read2_b64 v[12:15], v85 offset0:152 offset1:203
	ds_read2_b64 v[54:57], v84 offset1:51
	ds_read2_b64 v[16:19], v84 offset0:102 offset1:153
	ds_read2_b64 v[20:23], v84 offset0:204 offset1:255
	v_accvgpr_write_b32 a24, v60
	v_accvgpr_write_b32 a4, v42
	s_waitcnt lgkmcnt(2)
	v_pk_add_f32 v[24:25], v[54:55], v[56:57]
	v_accvgpr_write_b32 a25, v61
	s_waitcnt lgkmcnt(1)
	v_pk_add_f32 v[24:25], v[24:25], v[16:17]
	v_accvgpr_write_b32 a5, v43
	v_pk_add_f32 v[24:25], v[24:25], v[18:19]
	v_pk_add_f32 v[60:61], v[10:11], v[4:5]
	s_waitcnt lgkmcnt(0)
	v_pk_add_f32 v[24:25], v[24:25], v[20:21]
	v_pk_add_f32 v[42:43], v[4:5], v[10:11] neg_lo:[0,1] neg_hi:[0,1]
	v_pk_add_f32 v[24:25], v[24:25], v[22:23]
	v_accvgpr_write_b32 a2, v40
	v_pk_add_f32 v[4:5], v[24:25], v[4:5]
	v_accvgpr_write_b32 a3, v41
	v_pk_add_f32 v[24:25], v[4:5], v[6:7]
	v_pk_add_f32 v[74:75], v[8:9], v[6:7]
	;; [unrolled: 1-line block ×3, first 2 shown]
	v_pk_add_f32 v[40:41], v[6:7], v[8:9] neg_lo:[0,1] neg_hi:[0,1]
	v_pk_add_f32 v[24:25], v[24:25], v[14:15]
	ds_read2_b64 v[4:7], v2 offset0:100 offset1:151
	v_pk_add_f32 v[8:9], v[24:25], v[8:9]
	v_accvgpr_write_b32 a32, v68
	v_pk_add_f32 v[24:25], v[8:9], v[10:11]
	ds_read2_b64 v[8:11], v2 offset0:202 offset1:253
	v_accvgpr_write_b32 a33, v69
	v_accvgpr_write_b32 a19, v2
	s_waitcnt lgkmcnt(1)
	v_pk_add_f32 v[68:69], v[4:5], v[22:23]
	v_pk_add_f32 v[2:3], v[22:23], v[4:5] neg_lo:[0,1] neg_hi:[0,1]
	s_waitcnt lgkmcnt(0)
	v_pk_add_f32 v[82:83], v[8:9], v[18:19]
	v_pk_add_f32 v[0:1], v[18:19], v[8:9] neg_lo:[0,1] neg_hi:[0,1]
	ds_read_b64 v[18:19], v84 offset:6528
	v_pk_add_f32 v[4:5], v[24:25], v[4:5]
	v_accvgpr_write_b32 a12, v50
	v_pk_add_f32 v[4:5], v[4:5], v[6:7]
	v_accvgpr_write_b32 a8, v46
	;; [unrolled: 2-line block ×4, first 2 shown]
	v_pk_add_f32 v[72:73], v[14:15], v[12:13]
	v_pk_add_f32 v[46:47], v[12:13], v[14:15] neg_lo:[0,1] neg_hi:[0,1]
	s_waitcnt lgkmcnt(0)
	v_pk_add_f32 v[50:51], v[4:5], v[18:19]
	v_pk_add_f32 v[12:13], v[18:19], v[56:57]
	v_pk_add_f32 v[4:5], v[56:57], v[18:19] neg_lo:[0,1] neg_hi:[0,1]
	v_accvgpr_write_b32 a28, v64
	v_mov_b32_e32 v141, v13
	v_mov_b32_e32 v13, v4
	v_accvgpr_write_b32 a29, v65
	v_pk_add_f32 v[64:65], v[6:7], v[20:21]
	v_pk_add_f32 v[26:27], v[20:21], v[6:7] neg_lo:[0,1] neg_hi:[0,1]
	v_pk_add_f32 v[34:35], v[10:11], v[16:17]
	v_pk_add_f32 v[6:7], v[16:17], v[10:11] neg_lo:[0,1] neg_hi:[0,1]
	v_mov_b32_e32 v140, v5
	v_pk_mul_f32 v[4:5], v[12:13], s[46:47]
	v_mov_b32_e32 v135, v35
	v_mov_b32_e32 v35, v6
	v_accvgpr_write_b32 a39, v5
	v_mov_b32_e32 v134, v7
	v_pk_fma_f32 v[10:11], v[140:141], s[2:3], v[4:5] neg_lo:[1,0,0] neg_hi:[1,0,0]
	v_pk_fma_f32 v[126:127], v[140:141], s[2:3], v[4:5]
	v_accvgpr_write_b32 a38, v4
	v_pk_mul_f32 v[4:5], v[34:35], s[54:55]
	v_mov_b32_e32 v29, v83
	v_mov_b32_e32 v83, v0
	;; [unrolled: 1-line block ×3, first 2 shown]
	v_pk_fma_f32 v[18:19], v[134:135], s[22:23], v[4:5] neg_lo:[1,0,0] neg_hi:[1,0,0]
	v_pk_fma_f32 v[96:97], v[134:135], s[22:23], v[4:5]
	v_mov_b32_e32 v28, v1
	v_pk_mul_f32 v[0:1], v[82:83], s[40:41]
	v_pk_add_f32 v[14:15], v[54:55], v[10:11]
	v_mov_b32_e32 v19, v97
	v_pk_fma_f32 v[22:23], v[28:29], s[26:27], v[0:1] neg_lo:[1,0,0] neg_hi:[1,0,0]
	v_pk_fma_f32 v[94:95], v[28:29], s[26:27], v[0:1]
	v_pk_add_f32 v[20:21], v[18:19], v[14:15]
	v_mov_b32_e32 v23, v95
	s_mov_b32 s17, 0x3dbcf732
	v_accvgpr_write_b32 a43, v1
	v_pk_add_f32 v[30:31], v[22:23], v[20:21]
	v_mov_b32_e32 v23, v65
	v_mov_b32_e32 v65, v26
	s_mov_b32 s52, s17
	s_mov_b32 s53, s16
	v_accvgpr_write_b32 a42, v0
	v_mov_b32_e32 v22, v27
	v_pk_mul_f32 v[0:1], v[64:65], s[52:53]
	s_mov_b32 s14, 0xbf763a35
	v_pk_fma_f32 v[26:27], v[22:23], s[16:17], v[0:1] neg_lo:[1,0,0] neg_hi:[1,0,0]
	v_pk_fma_f32 v[80:81], v[22:23], s[16:17], v[0:1]
	s_mov_b32 s15, 0xbe8c1d8e
	v_mov_b32_e32 v27, v81
	v_accvgpr_write_b32 a45, v1
	v_pk_add_f32 v[32:33], v[26:27], v[30:31]
	v_mov_b32_e32 v27, v69
	v_mov_b32_e32 v69, v2
	s_mov_b32 s44, s15
	s_mov_b32 s45, s14
	v_accvgpr_write_b32 a44, v0
	v_mov_b32_e32 v26, v3
	v_pk_mul_f32 v[0:1], v[68:69], s[44:45]
	s_mov_b32 s12, 0xbf4c4adb
	v_pk_fma_f32 v[36:37], v[26:27], s[14:15], v[0:1] neg_lo:[1,0,0] neg_hi:[1,0,0]
	v_pk_fma_f32 v[76:77], v[26:27], s[14:15], v[0:1]
	v_accvgpr_write_b32 a0, v38
	v_mov_b32_e32 v37, v77
	s_mov_b32 s13, 0xbf1a4643
	v_accvgpr_write_b32 a1, v39
	v_accvgpr_write_b32 a47, v1
	v_pk_add_f32 v[38:39], v[36:37], v[32:33]
	v_mov_b32_e32 v33, v61
	v_mov_b32_e32 v61, v42
	s_mov_b32 s48, s13
	s_mov_b32 s49, s12
	v_accvgpr_write_b32 a46, v0
	v_mov_b32_e32 v32, v43
	v_pk_mul_f32 v[0:1], v[60:61], s[48:49]
	s_mov_b32 s20, 0xbf06c442
	v_pk_fma_f32 v[42:43], v[32:33], s[12:13], v[0:1] neg_lo:[1,0,0] neg_hi:[1,0,0]
	v_pk_fma_f32 v[56:57], v[32:33], s[12:13], v[0:1]
	v_accvgpr_write_b32 a6, v44
	v_mov_b32_e32 v43, v57
	s_mov_b32 s21, 0xbf59a7d5
	v_accvgpr_write_b32 a7, v45
	v_accvgpr_write_b32 a49, v1
	v_pk_add_f32 v[44:45], v[42:43], v[38:39]
	v_mov_b32_e32 v39, v75
	v_mov_b32_e32 v75, v40
	s_mov_b32 s50, s21
	s_mov_b32 s51, s20
	v_accvgpr_write_b32 a10, v48
	v_accvgpr_write_b32 a48, v0
	v_mov_b32_e32 v38, v41
	v_pk_mul_f32 v[0:1], v[74:75], s[50:51]
	v_accvgpr_write_b32 a11, v49
	v_pk_fma_f32 v[48:49], v[38:39], s[20:21], v[0:1] neg_lo:[1,0,0] neg_hi:[1,0,0]
	v_pk_fma_f32 v[40:41], v[38:39], s[20:21], v[0:1]
	s_mov_b32 s18, 0xbe3c28d5
	v_accvgpr_write_b32 a14, v52
	v_mov_b32_e32 v49, v41
	s_mov_b32 s19, 0xbf7ba420
	v_accvgpr_write_b32 a15, v53
	v_accvgpr_write_b32 a51, v1
	v_pk_add_f32 v[52:53], v[48:49], v[44:45]
	v_mov_b32_e32 v45, v73
	v_mov_b32_e32 v73, v46
	s_mov_b32 s56, s19
	s_mov_b32 s57, s18
	v_accvgpr_write_b32 a50, v0
	v_pk_mul_f32 v[0:1], v[72:73], s[56:57]
	v_accvgpr_write_b32 a22, v58
	v_mov_b32_e32 v44, v47
	v_accvgpr_write_b32 a53, v1
	v_accvgpr_write_b32 a23, v59
	v_pk_fma_f32 v[58:59], v[44:45], s[18:19], v[0:1] neg_lo:[1,0,0] neg_hi:[1,0,0]
	v_pk_fma_f32 v[46:47], v[44:45], s[18:19], v[0:1]
	v_accvgpr_write_b32 a52, v0
	v_accvgpr_read_b32 v1, a95              ;  Reload Reuse
	v_accvgpr_read_b32 v0, a97              ;  Reload Reuse
	v_mul_lo_u16_e32 v0, 17, v0
	v_mov_b32_e32 v59, v47
	v_lshlrev_b32_e32 v36, 3, v0
	v_pk_mul_f32 v[0:1], v[12:13], s[54:55]
	v_accvgpr_write_b32 a26, v62
	v_pk_add_f32 v[52:53], v[58:59], v[52:53]
	v_accvgpr_write_b32 a55, v1
	v_accvgpr_write_b32 a27, v63
	;; [unrolled: 1-line block ×3, first 2 shown]
	s_waitcnt lgkmcnt(0)
	; wave barrier
	ds_write2_b64 v36, v[50:51], v[52:53] offset1:1
	v_pk_fma_f32 v[62:63], v[140:141], s[22:23], v[0:1] neg_lo:[1,0,0] neg_hi:[1,0,0]
	v_pk_fma_f32 v[50:51], v[140:141], s[22:23], v[0:1]
	v_accvgpr_write_b32 a54, v0
	v_pk_mul_f32 v[0:1], v[34:35], s[52:53]
	v_accvgpr_write_b32 a31, v67
	v_mov_b32_e32 v63, v51
	v_pk_fma_f32 v[66:67], v[134:135], s[16:17], v[0:1] neg_lo:[1,0,0] neg_hi:[1,0,0]
	v_pk_fma_f32 v[52:53], v[134:135], s[16:17], v[0:1]
	v_accvgpr_write_b32 a57, v1
	v_accvgpr_write_b32 a34, v70
	;; [unrolled: 1-line block ×3, first 2 shown]
	v_mov_b32_e32 v67, v53
	v_pk_add_f32 v[62:63], v[54:55], v[62:63]
	v_pk_mul_f32 v[0:1], v[82:83], s[48:49]
	v_accvgpr_write_b32 a35, v71
	v_pk_add_f32 v[66:67], v[66:67], v[62:63]
	v_pk_fma_f32 v[70:71], v[28:29], s[12:13], v[0:1] neg_lo:[1,0,0] neg_hi:[1,0,0]
	v_pk_fma_f32 v[62:63], v[28:29], s[12:13], v[0:1]
	v_accvgpr_write_b32 a59, v1
	v_accvgpr_write_b32 a58, v0
	v_mov_b32_e32 v71, v63
	v_pk_mul_f32 v[0:1], v[64:65], s[56:57]
	s_mov_b32 s36, 0x3f06c442
	v_pk_add_f32 v[70:71], v[70:71], v[66:67]
	v_pk_fma_f32 v[78:79], v[22:23], s[18:19], v[0:1] neg_lo:[1,0,0] neg_hi:[1,0,0]
	v_pk_fma_f32 v[66:67], v[22:23], s[18:19], v[0:1]
	v_accvgpr_write_b32 a61, v1
	s_mov_b32 s66, s21
	s_mov_b32 s67, s36
	v_accvgpr_write_b32 a60, v0
	v_mov_b32_e32 v79, v67
	s_mov_b32 s37, s21
	v_pk_mul_f32 v[0:1], v[68:69], s[66:67]
	s_mov_b32 s34, 0x3f763a35
	v_pk_add_f32 v[78:79], v[78:79], v[70:71]
	v_pk_fma_f32 v[86:87], v[26:27], s[36:37], v[0:1] neg_lo:[1,0,0] neg_hi:[1,0,0]
	v_pk_fma_f32 v[70:71], v[26:27], s[36:37], v[0:1]
	s_mov_b32 s64, s15
	s_mov_b32 s65, s34
	v_mov_b32_e32 v87, v71
	s_mov_b32 s35, s15
	v_pk_mul_f32 v[58:59], v[60:61], s[64:65]
	s_mov_b32 s28, 0x3f65296c
	v_pk_add_f32 v[86:87], v[86:87], v[78:79]
	v_pk_fma_f32 v[88:89], v[32:33], s[34:35], v[58:59] neg_lo:[1,0,0] neg_hi:[1,0,0]
	v_pk_fma_f32 v[78:79], v[32:33], s[34:35], v[58:59]
	s_mov_b32 s58, s27
	s_mov_b32 s59, s28
	;; [unrolled: 9-line block ×3, first 2 shown]
	v_mov_b32_e32 v89, v125
	s_mov_b32 s25, s3
	v_pk_mul_f32 v[132:133], v[72:73], s[60:61]
	v_pk_add_f32 v[86:87], v[88:89], v[86:87]
	v_pk_fma_f32 v[88:89], v[44:45], s[24:25], v[132:133] neg_lo:[1,0,0] neg_hi:[1,0,0]
	v_pk_fma_f32 v[128:129], v[44:45], s[24:25], v[132:133]
	v_pk_mul_f32 v[142:143], v[12:13], s[40:41]
	v_mov_b32_e32 v89, v129
	v_pk_add_f32 v[86:87], v[88:89], v[86:87]
	v_pk_fma_f32 v[88:89], v[140:141], s[26:27], v[142:143] neg_lo:[1,0,0] neg_hi:[1,0,0]
	v_pk_fma_f32 v[136:137], v[140:141], s[26:27], v[142:143]
	v_pk_mul_f32 v[144:145], v[34:35], s[48:49]
	s_mov_b32 s42, 0x3e3c28d5
	v_mov_b32_e32 v89, v137
	v_pk_fma_f32 v[90:91], v[134:135], s[12:13], v[144:145] neg_lo:[1,0,0] neg_hi:[1,0,0]
	v_pk_fma_f32 v[138:139], v[134:135], s[12:13], v[144:145]
	s_mov_b32 s30, s19
	s_mov_b32 s31, s42
	v_mov_b32_e32 v91, v139
	v_pk_add_f32 v[88:89], v[54:55], v[88:89]
	s_mov_b32 s43, s19
	v_pk_mul_f32 v[154:155], v[82:83], s[30:31]
	v_pk_add_f32 v[88:89], v[90:91], v[88:89]
	v_pk_fma_f32 v[90:91], v[28:29], s[42:43], v[154:155] neg_lo:[1,0,0] neg_hi:[1,0,0]
	v_pk_fma_f32 v[146:147], v[28:29], s[42:43], v[154:155]
	v_pk_mul_f32 v[156:157], v[64:65], s[64:65]
	v_mov_b32_e32 v91, v147
	s_mov_b32 s30, 0x3f2c7751
	v_pk_add_f32 v[88:89], v[90:91], v[88:89]
	v_pk_fma_f32 v[90:91], v[22:23], s[34:35], v[156:157] neg_lo:[1,0,0] neg_hi:[1,0,0]
	v_pk_fma_f32 v[148:149], v[22:23], s[34:35], v[156:157]
	s_mov_b32 s62, s23
	s_mov_b32 s63, s30
	v_mov_b32_e32 v91, v149
	s_mov_b32 s31, s23
	v_pk_mul_f32 v[162:163], v[68:69], s[62:63]
	v_pk_add_f32 v[88:89], v[90:91], v[88:89]
	v_pk_fma_f32 v[90:91], v[26:27], s[30:31], v[162:163] neg_lo:[1,0,0] neg_hi:[1,0,0]
	v_pk_fma_f32 v[150:151], v[26:27], s[30:31], v[162:163]
	v_pk_mul_f32 v[164:165], v[60:61], s[46:47]
	v_mov_b32_e32 v91, v151
	v_pk_add_f32 v[88:89], v[90:91], v[88:89]
	v_pk_fma_f32 v[90:91], v[32:33], s[2:3], v[164:165] neg_lo:[1,0,0] neg_hi:[1,0,0]
	v_pk_fma_f32 v[152:153], v[32:33], s[2:3], v[164:165]
	v_pk_mul_f32 v[166:167], v[74:75], s[52:53]
	v_mov_b32_e32 v91, v153
	;; [unrolled: 5-line block ×4, first 2 shown]
	v_pk_add_f32 v[88:89], v[90:91], v[88:89]
	ds_write2_b64 v36, v[86:87], v[88:89] offset0:2 offset1:3
	v_pk_fma_f32 v[86:87], v[140:141], s[16:17], v[174:175] neg_lo:[1,0,0] neg_hi:[1,0,0]
	v_pk_fma_f32 v[170:171], v[140:141], s[16:17], v[174:175]
	v_pk_mul_f32 v[176:177], v[34:35], s[56:57]
	v_mov_b32_e32 v87, v171
	v_pk_fma_f32 v[88:89], v[134:135], s[18:19], v[176:177] neg_lo:[1,0,0] neg_hi:[1,0,0]
	v_pk_fma_f32 v[172:173], v[134:135], s[18:19], v[176:177]
	v_pk_add_f32 v[86:87], v[54:55], v[86:87]
	v_mov_b32_e32 v89, v173
	v_pk_mul_f32 v[186:187], v[82:83], s[64:65]
	v_pk_add_f32 v[86:87], v[88:89], v[86:87]
	v_pk_fma_f32 v[88:89], v[28:29], s[34:35], v[186:187] neg_lo:[1,0,0] neg_hi:[1,0,0]
	v_pk_fma_f32 v[178:179], v[28:29], s[34:35], v[186:187]
	v_pk_mul_f32 v[188:189], v[64:65], s[60:61]
	v_mov_b32_e32 v89, v179
	v_pk_add_f32 v[86:87], v[88:89], v[86:87]
	v_pk_fma_f32 v[88:89], v[22:23], s[24:25], v[188:189] neg_lo:[1,0,0] neg_hi:[1,0,0]
	v_pk_fma_f32 v[180:181], v[22:23], s[24:25], v[188:189]
	v_pk_mul_f32 v[192:193], v[68:69], s[40:41]
	v_mov_b32_e32 v89, v181
	;; [unrolled: 5-line block ×3, first 2 shown]
	s_mov_b32 s38, 0x3f4c4adb
	v_pk_add_f32 v[86:87], v[88:89], v[86:87]
	v_pk_fma_f32 v[88:89], v[32:33], s[20:21], v[194:195] neg_lo:[1,0,0] neg_hi:[1,0,0]
	v_pk_fma_f32 v[184:185], v[32:33], s[20:21], v[194:195]
	s_mov_b32 s68, s13
	s_mov_b32 s69, s38
	v_mov_b32_e32 v89, v185
	s_mov_b32 s39, s13
	v_pk_mul_f32 v[198:199], v[74:75], s[68:69]
	v_pk_add_f32 v[86:87], v[88:89], v[86:87]
	v_pk_fma_f32 v[88:89], v[38:39], s[38:39], v[198:199] neg_lo:[1,0,0] neg_hi:[1,0,0]
	v_pk_fma_f32 v[190:191], v[38:39], s[38:39], v[198:199]
	v_pk_mul_f32 v[200:201], v[72:73], s[62:63]
	v_mov_b32_e32 v89, v191
	v_pk_add_f32 v[86:87], v[88:89], v[86:87]
	v_pk_fma_f32 v[88:89], v[44:45], s[30:31], v[200:201] neg_lo:[1,0,0] neg_hi:[1,0,0]
	v_pk_fma_f32 v[196:197], v[44:45], s[30:31], v[200:201]
	v_pk_mul_f32 v[206:207], v[12:13], s[44:45]
	v_mov_b32_e32 v89, v197
	;; [unrolled: 5-line block ×3, first 2 shown]
	v_pk_fma_f32 v[88:89], v[134:135], s[36:37], v[208:209] neg_lo:[1,0,0] neg_hi:[1,0,0]
	v_pk_fma_f32 v[204:205], v[134:135], s[36:37], v[208:209]
	v_pk_add_f32 v[86:87], v[54:55], v[86:87]
	v_mov_b32_e32 v89, v205
	v_pk_mul_f32 v[48:49], v[82:83], s[62:63]
	v_pk_add_f32 v[88:89], v[88:89], v[86:87]
	v_pk_fma_f32 v[90:91], v[28:29], s[30:31], v[48:49] neg_lo:[1,0,0] neg_hi:[1,0,0]
	v_pk_fma_f32 v[86:87], v[28:29], s[30:31], v[48:49]
	v_pk_mul_f32 v[42:43], v[64:65], s[40:41]
	v_mov_b32_e32 v91, v87
	v_pk_add_f32 v[90:91], v[90:91], v[88:89]
	v_pk_fma_f32 v[92:93], v[22:23], s[26:27], v[42:43] neg_lo:[1,0,0] neg_hi:[1,0,0]
	v_pk_fma_f32 v[88:89], v[22:23], s[26:27], v[42:43]
	v_pk_mul_f32 v[210:211], v[68:69], s[56:57]
	v_mov_b32_e32 v93, v89
	s_mov_b32 s40, 0x3f7ee86f
	v_pk_add_f32 v[92:93], v[92:93], v[90:91]
	v_pk_fma_f32 v[98:99], v[26:27], s[18:19], v[210:211] neg_lo:[1,0,0] neg_hi:[1,0,0]
	v_pk_fma_f32 v[90:91], v[26:27], s[18:19], v[210:211]
	s_mov_b32 s66, s17
	s_mov_b32 s67, s40
	v_mov_b32_e32 v99, v91
	s_mov_b32 s41, s17
	v_pk_mul_f32 v[104:105], v[60:61], s[66:67]
	v_pk_add_f32 v[98:99], v[98:99], v[92:93]
	v_pk_fma_f32 v[102:103], v[32:33], s[40:41], v[104:105] neg_lo:[1,0,0] neg_hi:[1,0,0]
	v_pk_fma_f32 v[92:93], v[32:33], s[40:41], v[104:105]
	v_pk_mul_f32 v[108:109], v[74:75], s[46:47]
	v_mov_b32_e32 v103, v93
	v_pk_add_f32 v[102:103], v[102:103], v[98:99]
	v_pk_fma_f32 v[106:107], v[38:39], s[2:3], v[108:109] neg_lo:[1,0,0] neg_hi:[1,0,0]
	v_pk_fma_f32 v[98:99], v[38:39], s[2:3], v[108:109]
	v_pk_mul_f32 v[110:111], v[72:73], s[48:49]
	v_mov_b32_e32 v107, v99
	;; [unrolled: 5-line block ×3, first 2 shown]
	v_pk_add_f32 v[106:107], v[112:113], v[106:107]
	ds_write2_b64 v36, v[100:101], v[106:107] offset0:4 offset1:5
	v_pk_mul_f32 v[100:101], v[12:13], s[48:49]
	v_pk_fma_f32 v[118:119], v[134:135], s[34:35], v[116:117] neg_lo:[1,0,0] neg_hi:[1,0,0]
	v_pk_fma_f32 v[106:107], v[140:141], s[12:13], v[100:101] neg_lo:[1,0,0] neg_hi:[1,0,0]
	v_pk_fma_f32 v[112:113], v[140:141], s[12:13], v[100:101]
	v_pk_fma_f32 v[114:115], v[134:135], s[34:35], v[116:117]
	v_mov_b32_e32 v107, v113
	v_mov_b32_e32 v119, v115
	v_pk_add_f32 v[106:107], v[54:55], v[106:107]
	v_pk_mul_f32 v[214:215], v[82:83], s[46:47]
	v_pk_add_f32 v[118:119], v[118:119], v[106:107]
	v_pk_fma_f32 v[120:121], v[28:29], s[2:3], v[214:215] neg_lo:[1,0,0] neg_hi:[1,0,0]
	v_pk_fma_f32 v[106:107], v[28:29], s[2:3], v[214:215]
	v_pk_mul_f32 v[216:217], v[64:65], s[50:51]
	v_mov_b32_e32 v121, v107
	v_pk_add_f32 v[120:121], v[120:121], v[118:119]
	v_pk_fma_f32 v[122:123], v[22:23], s[20:21], v[216:217] neg_lo:[1,0,0] neg_hi:[1,0,0]
	v_pk_fma_f32 v[118:119], v[22:23], s[20:21], v[216:217]
	v_pk_mul_f32 v[220:221], v[68:69], s[66:67]
	v_mov_b32_e32 v123, v119
	;; [unrolled: 5-line block ×6, first 2 shown]
	v_pk_add_f32 v[228:229], v[232:233], v[228:229]
	v_pk_mul_f32 v[232:233], v[12:13], s[50:51]
	v_pk_fma_f32 v[240:241], v[134:135], s[28:29], v[238:239] neg_lo:[1,0,0] neg_hi:[1,0,0]
	v_pk_fma_f32 v[234:235], v[140:141], s[20:21], v[232:233] neg_lo:[1,0,0] neg_hi:[1,0,0]
	v_pk_fma_f32 v[236:237], v[140:141], s[20:21], v[232:233]
	v_pk_fma_f32 v[242:243], v[134:135], s[28:29], v[238:239]
	v_mov_b32_e32 v235, v237
	v_mov_b32_e32 v241, v243
	v_pk_add_f32 v[234:235], v[54:55], v[234:235]
	v_accvgpr_write_b32 a63, v1
	v_pk_add_f32 v[234:235], v[240:241], v[234:235]
	v_pk_mul_f32 v[240:241], v[82:83], s[52:53]
	v_accvgpr_write_b32 a62, v0
	v_pk_fma_f32 v[244:245], v[28:29], s[16:17], v[240:241] neg_lo:[1,0,0] neg_hi:[1,0,0]
	v_pk_fma_f32 v[246:247], v[28:29], s[16:17], v[240:241]
	v_pk_mul_f32 v[30:31], v[12:13], s[56:57]
	v_mov_b32_e32 v245, v247
	v_pk_add_f32 v[234:235], v[244:245], v[234:235]
	v_pk_mul_f32 v[244:245], v[64:65], s[68:69]
	v_pk_fma_f32 v[14:15], v[140:141], s[18:19], v[30:31]
	v_pk_fma_f32 v[248:249], v[22:23], s[38:39], v[244:245] neg_lo:[1,0,0] neg_hi:[1,0,0]
	v_pk_fma_f32 v[250:251], v[22:23], s[38:39], v[244:245]
	v_pk_mul_f32 v[34:35], v[34:35], s[60:61]
	v_mov_b32_e32 v249, v251
	v_pk_add_f32 v[234:235], v[248:249], v[234:235]
	v_pk_mul_f32 v[248:249], v[68:69], s[46:47]
	v_pk_fma_f32 v[12:13], v[134:135], s[24:25], v[34:35]
	;; [unrolled: 7-line block ×5, first 2 shown]
	v_pk_fma_f32 v[0:1], v[44:45], s[14:15], v[224:225] neg_lo:[1,0,0] neg_hi:[1,0,0]
	v_pk_fma_f32 v[18:19], v[44:45], s[14:15], v[224:225]
	v_accvgpr_write_b32 a41, v5
	v_mov_b32_e32 v1, v19
	v_pk_add_f32 v[0:1], v[0:1], v[2:3]
	v_pk_fma_f32 v[2:3], v[140:141], s[18:19], v[30:31] neg_lo:[1,0,0] neg_hi:[1,0,0]
	ds_write2_b64 v36, v[228:229], v[0:1] offset0:6 offset1:7
	v_mov_b32_e32 v3, v15
	v_pk_fma_f32 v[228:229], v[134:135], s[24:25], v[34:35] neg_lo:[1,0,0] neg_hi:[1,0,0]
	v_pk_add_f32 v[2:3], v[54:55], v[2:3]
	v_mov_b32_e32 v229, v13
	v_pk_add_f32 v[0:1], v[228:229], v[2:3]
	v_pk_fma_f32 v[228:229], v[28:29], s[20:21], v[82:83] neg_lo:[1,0,0] neg_hi:[1,0,0]
	v_pk_fma_f32 v[30:31], v[140:141], s[18:19], v[30:31] neg_lo:[0,0,1] neg_hi:[0,0,1]
	v_mov_b32_e32 v229, v11
	v_pk_add_f32 v[0:1], v[228:229], v[0:1]
	v_pk_fma_f32 v[228:229], v[22:23], s[30:31], v[64:65] neg_lo:[1,0,0] neg_hi:[1,0,0]
	v_mov_b32_e32 v15, v31
	v_mov_b32_e32 v229, v9
	v_pk_add_f32 v[0:1], v[228:229], v[0:1]
	v_pk_fma_f32 v[228:229], v[26:27], s[12:13], v[68:69] neg_lo:[1,0,0] neg_hi:[1,0,0]
	v_pk_fma_f32 v[30:31], v[134:135], s[24:25], v[34:35] neg_lo:[0,0,1] neg_hi:[0,0,1]
	v_mov_b32_e32 v229, v7
	v_pk_mul_f32 v[60:61], v[60:61], s[58:59]
	v_mov_b32_e32 v13, v31
	v_pk_fma_f32 v[30:31], v[28:29], s[20:21], v[82:83] neg_lo:[0,0,1] neg_hi:[0,0,1]
	v_pk_add_f32 v[14:15], v[54:55], v[14:15]
	v_accvgpr_write_b32 a40, v4
	v_pk_add_f32 v[0:1], v[228:229], v[0:1]
	v_pk_fma_f32 v[228:229], v[32:33], s[28:29], v[60:61] neg_lo:[1,0,0] neg_hi:[1,0,0]
	v_pk_fma_f32 v[4:5], v[32:33], s[28:29], v[60:61]
	v_mov_b32_e32 v11, v31
	v_pk_fma_f32 v[30:31], v[22:23], s[30:31], v[64:65] neg_lo:[0,0,1] neg_hi:[0,0,1]
	v_pk_add_f32 v[12:13], v[12:13], v[14:15]
	v_mov_b32_e32 v229, v5
	v_pk_mul_f32 v[74:75], v[74:75], s[44:45]
	v_mov_b32_e32 v9, v31
	v_pk_fma_f32 v[30:31], v[26:27], s[12:13], v[68:69] neg_lo:[0,0,1] neg_hi:[0,0,1]
	v_pk_add_f32 v[10:11], v[10:11], v[12:13]
	v_pk_add_f32 v[0:1], v[228:229], v[0:1]
	v_pk_fma_f32 v[228:229], v[38:39], s[14:15], v[74:75] neg_lo:[1,0,0] neg_hi:[1,0,0]
	v_pk_fma_f32 v[2:3], v[38:39], s[14:15], v[74:75]
	v_mov_b32_e32 v7, v31
	v_pk_fma_f32 v[30:31], v[32:33], s[28:29], v[60:61] neg_lo:[0,0,1] neg_hi:[0,0,1]
	v_pk_add_f32 v[8:9], v[8:9], v[10:11]
	v_mov_b32_e32 v229, v3
	v_pk_mul_f32 v[72:73], v[72:73], s[66:67]
	v_mov_b32_e32 v5, v31
	v_pk_fma_f32 v[30:31], v[38:39], s[14:15], v[74:75] neg_lo:[0,0,1] neg_hi:[0,0,1]
	v_pk_add_f32 v[6:7], v[6:7], v[8:9]
	v_pk_add_f32 v[16:17], v[228:229], v[0:1]
	v_pk_fma_f32 v[228:229], v[44:45], s[40:41], v[72:73] neg_lo:[1,0,0] neg_hi:[1,0,0]
	v_pk_fma_f32 v[0:1], v[44:45], s[40:41], v[72:73]
	v_mov_b32_e32 v3, v31
	v_pk_fma_f32 v[30:31], v[44:45], s[40:41], v[72:73] neg_lo:[0,0,1] neg_hi:[0,0,1]
	v_pk_add_f32 v[4:5], v[4:5], v[6:7]
	v_mov_b32_e32 v229, v1
	v_mov_b32_e32 v1, v31
	v_pk_add_f32 v[2:3], v[2:3], v[4:5]
	v_pk_add_f32 v[16:17], v[228:229], v[16:17]
	;; [unrolled: 1-line block ×3, first 2 shown]
	ds_write2_b64 v36, v[16:17], v[0:1] offset0:8 offset1:9
	v_pk_fma_f32 v[0:1], v[140:141], s[20:21], v[232:233] neg_lo:[0,0,1] neg_hi:[0,0,1]
	v_pk_fma_f32 v[2:3], v[140:141], s[12:13], v[100:101] neg_lo:[0,0,1] neg_hi:[0,0,1]
	v_mov_b32_e32 v237, v1
	v_pk_fma_f32 v[0:1], v[134:135], s[28:29], v[238:239] neg_lo:[0,0,1] neg_hi:[0,0,1]
	v_mov_b32_e32 v113, v3
	;; [unrolled: 2-line block ×15, first 2 shown]
	v_pk_add_f32 v[0:1], v[54:55], v[236:237]
	v_mov_b32_e32 v219, v3
	v_pk_add_f32 v[2:3], v[54:55], v[112:113]
	v_pk_add_f32 v[0:1], v[242:243], v[0:1]
	;; [unrolled: 1-line block ×15, first 2 shown]
	ds_write2_b64 v36, v[0:1], v[2:3] offset0:10 offset1:11
	v_pk_fma_f32 v[0:1], v[140:141], s[14:15], v[206:207] neg_lo:[0,0,1] neg_hi:[0,0,1]
	v_pk_fma_f32 v[2:3], v[140:141], s[16:17], v[174:175] neg_lo:[0,0,1] neg_hi:[0,0,1]
	v_mov_b32_e32 v203, v1
	v_pk_fma_f32 v[0:1], v[134:135], s[36:37], v[208:209] neg_lo:[0,0,1] neg_hi:[0,0,1]
	v_mov_b32_e32 v171, v3
	;; [unrolled: 2-line block ×15, first 2 shown]
	v_pk_add_f32 v[0:1], v[54:55], v[202:203]
	v_mov_b32_e32 v197, v3
	v_pk_add_f32 v[2:3], v[54:55], v[170:171]
	v_pk_add_f32 v[0:1], v[204:205], v[0:1]
	;; [unrolled: 1-line block ×15, first 2 shown]
	ds_write2_b64 v36, v[0:1], v[2:3] offset0:12 offset1:13
	v_accvgpr_read_b32 v2, a54
	v_accvgpr_read_b32 v3, a55
	v_pk_fma_f32 v[2:3], v[140:141], s[22:23], v[2:3] neg_lo:[0,0,1] neg_hi:[0,0,1]
	v_pk_fma_f32 v[0:1], v[140:141], s[26:27], v[142:143] neg_lo:[0,0,1] neg_hi:[0,0,1]
	v_mov_b32_e32 v51, v3
	v_accvgpr_read_b32 v2, a56
	v_accvgpr_read_b32 v3, a57
	v_pk_fma_f32 v[2:3], v[134:135], s[16:17], v[2:3] neg_lo:[0,0,1] neg_hi:[0,0,1]
	v_mov_b32_e32 v137, v1
	v_mov_b32_e32 v53, v3
	v_accvgpr_read_b32 v2, a58
	v_accvgpr_read_b32 v3, a59
	v_pk_fma_f32 v[2:3], v[28:29], s[12:13], v[2:3] neg_lo:[0,0,1] neg_hi:[0,0,1]
	v_pk_fma_f32 v[0:1], v[134:135], s[12:13], v[144:145] neg_lo:[0,0,1] neg_hi:[0,0,1]
	v_mov_b32_e32 v63, v3
	v_accvgpr_read_b32 v2, a60
	v_accvgpr_read_b32 v3, a61
	v_pk_fma_f32 v[2:3], v[22:23], s[18:19], v[2:3] neg_lo:[0,0,1] neg_hi:[0,0,1]
	v_mov_b32_e32 v139, v1
	v_pk_fma_f32 v[0:1], v[28:29], s[42:43], v[154:155] neg_lo:[0,0,1] neg_hi:[0,0,1]
	v_mov_b32_e32 v67, v3
	v_accvgpr_read_b32 v2, a62
	v_mov_b32_e32 v147, v1
	v_pk_fma_f32 v[0:1], v[22:23], s[34:35], v[156:157] neg_lo:[0,0,1] neg_hi:[0,0,1]
	v_accvgpr_read_b32 v3, a63
	v_mov_b32_e32 v149, v1
	v_pk_fma_f32 v[0:1], v[26:27], s[30:31], v[162:163] neg_lo:[0,0,1] neg_hi:[0,0,1]
	v_pk_fma_f32 v[2:3], v[26:27], s[36:37], v[2:3] neg_lo:[0,0,1] neg_hi:[0,0,1]
	v_mov_b32_e32 v151, v1
	v_pk_fma_f32 v[0:1], v[32:33], s[2:3], v[164:165] neg_lo:[0,0,1] neg_hi:[0,0,1]
	v_mov_b32_e32 v71, v3
	;; [unrolled: 2-line block ×7, first 2 shown]
	v_pk_add_f32 v[0:1], v[54:55], v[136:137]
	v_mov_b32_e32 v129, v3
	v_pk_add_f32 v[2:3], v[54:55], v[50:51]
	v_pk_add_f32 v[0:1], v[138:139], v[0:1]
	;; [unrolled: 1-line block ×15, first 2 shown]
	ds_write2_b64 v36, v[0:1], v[2:3] offset0:14 offset1:15
	v_accvgpr_read_b32 v2, a40
	v_accvgpr_read_b32 v3, a41
	v_pk_fma_f32 v[2:3], v[134:135], s[22:23], v[2:3] neg_lo:[0,0,1] neg_hi:[0,0,1]
	v_accvgpr_read_b32 v0, a38
	v_mov_b32_e32 v97, v3
	v_accvgpr_read_b32 v2, a42
	v_accvgpr_read_b32 v3, a43
	v_pk_fma_f32 v[2:3], v[28:29], s[26:27], v[2:3] neg_lo:[0,0,1] neg_hi:[0,0,1]
	v_accvgpr_read_b32 v1, a39
	v_mov_b32_e32 v95, v3
	v_accvgpr_read_b32 v2, a44
	v_accvgpr_read_b32 v3, a45
	v_pk_fma_f32 v[2:3], v[22:23], s[16:17], v[2:3] neg_lo:[0,0,1] neg_hi:[0,0,1]
	v_pk_fma_f32 v[0:1], v[140:141], s[2:3], v[0:1] neg_lo:[0,0,1] neg_hi:[0,0,1]
	v_mov_b32_e32 v81, v3
	v_accvgpr_read_b32 v2, a46
	v_accvgpr_read_b32 v3, a47
	v_pk_fma_f32 v[2:3], v[26:27], s[14:15], v[2:3] neg_lo:[0,0,1] neg_hi:[0,0,1]
	v_mov_b32_e32 v127, v1
	v_mov_b32_e32 v77, v3
	v_accvgpr_read_b32 v2, a48
	v_accvgpr_read_b32 v3, a49
	v_pk_fma_f32 v[2:3], v[32:33], s[12:13], v[2:3] neg_lo:[0,0,1] neg_hi:[0,0,1]
	v_pk_add_f32 v[0:1], v[54:55], v[126:127]
	v_mov_b32_e32 v57, v3
	v_accvgpr_read_b32 v2, a50
	v_pk_add_f32 v[0:1], v[96:97], v[0:1]
	v_accvgpr_read_b32 v3, a51
	v_pk_add_f32 v[0:1], v[94:95], v[0:1]
	v_pk_fma_f32 v[2:3], v[38:39], s[20:21], v[2:3] neg_lo:[0,0,1] neg_hi:[0,0,1]
	v_pk_add_f32 v[0:1], v[80:81], v[0:1]
	v_mov_b32_e32 v41, v3
	v_accvgpr_read_b32 v2, a52
	v_pk_add_f32 v[0:1], v[76:77], v[0:1]
	v_accvgpr_read_b32 v3, a53
	v_pk_add_f32 v[0:1], v[56:57], v[0:1]
	v_pk_fma_f32 v[2:3], v[44:45], s[18:19], v[2:3] neg_lo:[0,0,1] neg_hi:[0,0,1]
	v_pk_add_f32 v[0:1], v[40:41], v[0:1]
	v_mov_b32_e32 v47, v3
	v_pk_add_f32 v[0:1], v[46:47], v[0:1]
	ds_write_b64 v36, v[0:1] offset:128
	v_accvgpr_read_b32 v1, a95              ;  Reload Reuse
	s_movk_i32 s25, 0xf1
	v_accvgpr_read_b32 v0, a97              ;  Reload Reuse
	v_mul_lo_u16_sdwa v0, v0, s25 dst_sel:DWORD dst_unused:UNUSED_PAD src0_sel:BYTE_0 src1_sel:DWORD
	v_accvgpr_write_b32 a48, v36
	v_lshrrev_b16_e32 v36, 12, v0
	v_accvgpr_read_b32 v3, a95              ;  Reload Reuse
	v_mul_lo_u16_e32 v0, 17, v36
	v_accvgpr_read_b32 v2, a97              ;  Reload Reuse
	v_sub_u16_e32 v0, v2, v0
	v_and_b32_e32 v40, 0xff, v0
	v_lshlrev_b32_e32 v0, 7, v40
	s_waitcnt lgkmcnt(0)
	; wave barrier
	s_waitcnt lgkmcnt(0)
	global_load_dwordx4 v[206:209], v0, s[10:11] offset:48
	global_load_dwordx4 v[2:5], v0, s[10:11] offset:32
	;; [unrolled: 1-line block ×5, first 2 shown]
	global_load_dwordx4 v[10:13], v0, s[10:11]
	global_load_dwordx4 v[26:29], v0, s[10:11] offset:96
	global_load_dwordx4 v[186:189], v0, s[10:11] offset:112
	ds_read2_b64 v[32:35], v85 offset0:50 offset1:101
	ds_read2_b64 v[42:45], v85 offset0:152 offset1:203
	v_mov_b32_e32 v25, v85
	v_accvgpr_read_b32 v85, a19
	s_mov_b32 s44, s3
	s_mov_b32 s46, s23
	;; [unrolled: 1-line block ×8, first 2 shown]
	s_waitcnt vmcnt(7)
	v_mov_b32_e32 v0, v209
	s_waitcnt vmcnt(6)
	v_mov_b32_e32 v38, v5
	s_waitcnt lgkmcnt(1)
	v_pk_mul_f32 v[38:39], v[32:33], v[38:39] op_sel_hi:[1,0]
	s_waitcnt vmcnt(4)
	v_accvgpr_write_b32 a80, v105
	v_pk_fma_f32 v[46:47], v[32:33], v[4:5], v[38:39] op_sel:[0,0,1] op_sel_hi:[1,0,0]
	v_pk_fma_f32 v[38:39], v[32:33], v[4:5], v[38:39] op_sel:[0,0,1] op_sel_hi:[1,0,0] neg_lo:[0,0,1] neg_hi:[0,0,1]
	v_pk_mul_f32 v[32:33], v[34:35], v[206:207] op_sel:[0,1]
	v_mov_b32_e32 v39, v47
	v_pk_fma_f32 v[48:49], v[34:35], v[206:207], v[32:33] op_sel:[0,0,1] op_sel_hi:[1,0,0]
	v_pk_fma_f32 v[50:51], v[34:35], v[206:207], v[32:33] op_sel:[0,0,1] op_sel_hi:[1,0,0] neg_lo:[0,0,1] neg_hi:[0,0,1]
	s_waitcnt lgkmcnt(0)
	v_pk_mul_f32 v[32:33], v[42:43], v[0:1] op_sel_hi:[1,0]
	v_accvgpr_read_b32 v0, a36
	v_pk_fma_f32 v[52:53], v[42:43], v[208:209], v[32:33] op_sel:[0,0,1] op_sel_hi:[1,0,0]
	v_pk_fma_f32 v[54:55], v[42:43], v[208:209], v[32:33] op_sel:[0,0,1] op_sel_hi:[1,0,0] neg_lo:[0,0,1] neg_hi:[0,0,1]
	ds_read2_b64 v[32:35], v0 offset0:126 offset1:177
	v_pk_mul_f32 v[42:43], v[44:45], v[116:117] op_sel:[0,1]
	v_mov_b32_e32 v0, v119
	v_pk_fma_f32 v[56:57], v[44:45], v[116:117], v[42:43] op_sel:[0,0,1] op_sel_hi:[1,0,0]
	v_pk_fma_f32 v[58:59], v[44:45], v[116:117], v[42:43] op_sel:[0,0,1] op_sel_hi:[1,0,0] neg_lo:[0,0,1] neg_hi:[0,0,1]
	ds_read2_b64 v[42:45], v84 offset0:102 offset1:153
	s_waitcnt lgkmcnt(1)
	v_pk_mul_f32 v[60:61], v[32:33], v[0:1] op_sel_hi:[1,0]
	v_mov_b32_e32 v0, v105
	v_pk_fma_f32 v[62:63], v[32:33], v[118:119], v[60:61] op_sel:[0,0,1] op_sel_hi:[1,0,0]
	v_pk_fma_f32 v[60:61], v[32:33], v[118:119], v[60:61] op_sel:[0,0,1] op_sel_hi:[1,0,0] neg_lo:[0,0,1] neg_hi:[0,0,1]
	v_pk_mul_f32 v[32:33], v[34:35], v[102:103] op_sel:[0,1]
	v_mov_b32_e32 v51, v49
	v_pk_fma_f32 v[64:65], v[34:35], v[102:103], v[32:33] op_sel:[0,0,1] op_sel_hi:[1,0,0]
	v_pk_fma_f32 v[66:67], v[34:35], v[102:103], v[32:33] op_sel:[0,0,1] op_sel_hi:[1,0,0] neg_lo:[0,0,1] neg_hi:[0,0,1]
	s_waitcnt vmcnt(3) lgkmcnt(0)
	v_pk_mul_f32 v[32:33], v[44:45], v[6:7] op_sel:[0,1]
	v_mov_b32_e32 v55, v53
	v_pk_fma_f32 v[68:69], v[44:45], v[6:7], v[32:33] op_sel:[0,0,1] op_sel_hi:[1,1,0] neg_lo:[0,0,1] neg_hi:[0,0,1]
	v_pk_fma_f32 v[70:71], v[44:45], v[6:7], v[32:33] op_sel:[0,0,1] op_sel_hi:[1,0,0]
	ds_read2_b64 v[32:35], v84 offset0:204 offset1:255
	s_waitcnt vmcnt(2)
	v_mov_b32_e32 v44, v13
	v_pk_mul_f32 v[44:45], v[42:43], v[44:45] op_sel_hi:[1,0]
	v_mov_b32_e32 v69, v71
	v_pk_fma_f32 v[72:73], v[42:43], v[12:13], v[44:45] op_sel:[0,0,1] op_sel_hi:[1,1,0] neg_lo:[0,0,1] neg_hi:[0,0,1]
	v_pk_fma_f32 v[74:75], v[42:43], v[12:13], v[44:45] op_sel:[0,0,1] op_sel_hi:[1,0,0]
	v_mov_b32_e32 v42, v9
	s_waitcnt lgkmcnt(0)
	v_pk_mul_f32 v[42:43], v[32:33], v[42:43] op_sel_hi:[1,0]
	v_mov_b32_e32 v73, v75
	v_pk_fma_f32 v[76:77], v[32:33], v[8:9], v[42:43] op_sel:[0,0,1] op_sel_hi:[1,1,0] neg_lo:[0,0,1] neg_hi:[0,0,1]
	v_pk_fma_f32 v[78:79], v[32:33], v[8:9], v[42:43] op_sel:[0,0,1] op_sel_hi:[1,0,0]
	ds_read2_b64 v[42:45], v85 offset0:100 offset1:151
	v_pk_mul_f32 v[32:33], v[34:35], v[2:3] op_sel:[0,1]
	v_mov_b32_e32 v77, v79
	v_pk_fma_f32 v[86:87], v[34:35], v[2:3], v[32:33] op_sel:[0,0,1] op_sel_hi:[1,1,0] neg_lo:[0,0,1] neg_hi:[0,0,1]
	v_pk_fma_f32 v[80:81], v[34:35], v[2:3], v[32:33] op_sel:[0,0,1] op_sel_hi:[1,0,0]
	s_waitcnt lgkmcnt(0)
	v_pk_mul_f32 v[32:33], v[42:43], v[0:1] op_sel_hi:[1,0]
	s_waitcnt vmcnt(1)
	v_pk_mul_f32 v[82:83], v[44:45], v[26:27] op_sel:[0,1]
	v_pk_fma_f32 v[88:89], v[42:43], v[104:105], v[32:33] op_sel:[0,0,1] op_sel_hi:[1,1,0] neg_lo:[0,0,1] neg_hi:[0,0,1]
	v_pk_fma_f32 v[42:43], v[42:43], v[104:105], v[32:33] op_sel:[0,0,1] op_sel_hi:[1,0,0]
	ds_read2_b64 v[32:35], v85 offset0:202 offset1:253
	v_mov_b32_e32 v0, v29
	v_pk_fma_f32 v[90:91], v[44:45], v[26:27], v[82:83] op_sel:[0,0,1] op_sel_hi:[1,1,0] neg_lo:[0,0,1] neg_hi:[0,0,1]
	v_pk_fma_f32 v[44:45], v[44:45], v[26:27], v[82:83] op_sel:[0,0,1] op_sel_hi:[1,0,0]
	v_mov_b32_e32 v89, v43
	s_waitcnt lgkmcnt(0)
	v_pk_mul_f32 v[82:83], v[32:33], v[0:1] op_sel_hi:[1,0]
	s_waitcnt vmcnt(0)
	v_mov_b32_e32 v0, v189
	v_pk_fma_f32 v[92:93], v[32:33], v[28:29], v[82:83] op_sel:[0,0,1] op_sel_hi:[1,1,0] neg_lo:[0,0,1] neg_hi:[0,0,1]
	v_pk_fma_f32 v[82:83], v[32:33], v[28:29], v[82:83] op_sel:[0,0,1] op_sel_hi:[1,0,0]
	v_pk_mul_f32 v[32:33], v[34:35], v[186:187] op_sel:[0,1]
	v_mov_b32_e32 v91, v45
	v_pk_fma_f32 v[94:95], v[34:35], v[186:187], v[32:33] op_sel:[0,0,1] op_sel_hi:[1,1,0] neg_lo:[0,0,1] neg_hi:[0,0,1]
	v_pk_fma_f32 v[96:97], v[34:35], v[186:187], v[32:33] op_sel:[0,0,1] op_sel_hi:[1,0,0]
	ds_read2_b64 v[32:35], v84 offset1:51
	v_mov_b32_e32 v87, v81
	v_mov_b32_e32 v59, v57
	;; [unrolled: 1-line block ×4, first 2 shown]
	s_waitcnt lgkmcnt(0)
	v_pk_mul_f32 v[46:47], v[34:35], v[10:11] op_sel:[0,1]
	v_mov_b32_e32 v93, v83
	v_pk_fma_f32 v[48:49], v[34:35], v[10:11], v[46:47] op_sel:[0,0,1] op_sel_hi:[1,1,0] neg_lo:[0,0,1] neg_hi:[0,0,1]
	v_pk_fma_f32 v[34:35], v[34:35], v[10:11], v[46:47] op_sel:[0,0,1] op_sel_hi:[1,0,0]
	v_mov_b32_e32 v95, v97
	v_mov_b32_e32 v49, v35
	ds_read_b64 v[34:35], v84 offset:6528
	v_pk_add_f32 v[82:83], v[54:55], v[58:59]
	v_pk_add_f32 v[142:143], v[54:55], v[58:59] neg_lo:[0,1] neg_hi:[0,1]
	v_pk_add_f32 v[134:135], v[72:73], v[94:95] neg_lo:[0,1] neg_hi:[0,1]
	v_pk_add_f32 v[168:169], v[38:39], v[66:67]
	s_waitcnt lgkmcnt(0)
	v_pk_mul_f32 v[42:43], v[34:35], v[0:1] op_sel_hi:[1,0]
	v_pk_add_f32 v[176:177], v[38:39], v[66:67] neg_lo:[0,1] neg_hi:[0,1]
	v_pk_fma_f32 v[44:45], v[34:35], v[188:189], v[42:43] op_sel:[0,0,1] op_sel_hi:[1,1,0] neg_lo:[0,0,1] neg_hi:[0,0,1]
	v_pk_fma_f32 v[34:35], v[34:35], v[188:189], v[42:43] op_sel:[0,0,1] op_sel_hi:[1,0,0]
	v_pk_add_f32 v[78:79], v[72:73], v[94:95]
	v_mov_b32_e32 v45, v35
	v_pk_add_f32 v[34:35], v[32:33], v[48:49]
	v_pk_add_f32 v[150:151], v[48:49], v[44:45] neg_lo:[0,1] neg_hi:[0,1]
	v_pk_add_f32 v[34:35], v[34:35], v[72:73]
	v_pk_add_f32 v[144:145], v[48:49], v[44:45]
	;; [unrolled: 1-line block ×3, first 2 shown]
	v_pk_add_f32 v[174:175], v[68:69], v[92:93] neg_lo:[0,1] neg_hi:[0,1]
	v_pk_add_f32 v[34:35], v[34:35], v[76:77]
	v_pk_add_f32 v[166:167], v[68:69], v[92:93]
	;; [unrolled: 1-line block ×3, first 2 shown]
	v_pk_mul_f32 v[46:47], v[174:175], s[26:27] op_sel:[1,0] op_sel_hi:[0,0]
	v_pk_add_f32 v[34:35], v[34:35], v[38:39]
	v_pk_add_f32 v[152:153], v[76:77], v[90:91] neg_lo:[0,1] neg_hi:[0,1]
	v_pk_add_f32 v[34:35], v[34:35], v[50:51]
	v_pk_add_f32 v[136:137], v[86:87], v[88:89] neg_lo:[0,1] neg_hi:[0,1]
	v_pk_add_f32 v[34:35], v[34:35], v[54:55]
	v_pk_add_f32 v[146:147], v[76:77], v[90:91]
	;; [unrolled: 1-line block ×3, first 2 shown]
	v_pk_mul_f32 v[48:49], v[152:153], s[16:17] op_sel:[1,0] op_sel_hi:[0,0]
	v_pk_add_f32 v[34:35], v[34:35], v[60:61]
	v_pk_add_f32 v[156:157], v[50:51], v[60:61]
	;; [unrolled: 1-line block ×3, first 2 shown]
	v_pk_add_f32 v[160:161], v[50:51], v[60:61] neg_lo:[0,1] neg_hi:[0,1]
	v_pk_add_f32 v[34:35], v[34:35], v[88:89]
	v_pk_add_f32 v[80:81], v[86:87], v[88:89]
	;; [unrolled: 1-line block ×3, first 2 shown]
	v_pk_mul_f32 v[50:51], v[136:137], s[14:15] op_sel:[1,0] op_sel_hi:[0,0]
	v_pk_add_f32 v[34:35], v[34:35], v[92:93]
	v_pk_fma_f32 v[0:1], v[80:81], s[56:57], v[50:51] op_sel_hi:[1,0,1]
	v_pk_add_f32 v[34:35], v[34:35], v[94:95]
	v_pk_fma_f32 v[50:51], v[80:81], s[56:57], v[50:51] op_sel_hi:[1,0,1] neg_lo:[0,0,1] neg_hi:[0,0,1]
	v_pk_add_f32 v[54:55], v[34:35], v[44:45]
	v_pk_mul_f32 v[34:35], v[150:151], s[2:3] op_sel:[1,0] op_sel_hi:[0,0]
	v_pk_fma_f32 v[38:39], v[144:145], s[44:45], v[34:35] op_sel_hi:[1,0,1]
	v_pk_fma_f32 v[42:43], v[144:145], s[44:45], v[34:35] op_sel_hi:[1,0,1] neg_lo:[0,0,1] neg_hi:[0,0,1]
	v_pk_mul_f32 v[44:45], v[134:135], s[22:23] op_sel:[1,0] op_sel_hi:[0,0]
	v_pk_fma_f32 v[34:35], v[78:79], s[46:47], v[44:45] op_sel_hi:[1,0,1]
	v_pk_fma_f32 v[44:45], v[78:79], s[46:47], v[44:45] op_sel_hi:[1,0,1] neg_lo:[0,0,1] neg_hi:[0,0,1]
	v_mov_b32_e32 v37, v43
	v_mov_b32_e32 v43, v39
	v_pk_add_f32 v[42:43], v[32:33], v[42:43]
	v_mov_b32_e32 v39, v45
	v_mov_b32_e32 v45, v35
	v_pk_add_f32 v[42:43], v[44:45], v[42:43]
	v_pk_fma_f32 v[44:45], v[166:167], s[52:53], v[46:47] op_sel_hi:[1,0,1]
	v_pk_fma_f32 v[46:47], v[166:167], s[52:53], v[46:47] op_sel_hi:[1,0,1] neg_lo:[0,0,1] neg_hi:[0,0,1]
	v_pk_mul_f32 v[52:53], v[176:177], s[12:13] op_sel:[1,0] op_sel_hi:[0,0]
	v_mov_b32_e32 v41, v47
	v_mov_b32_e32 v47, v45
	v_pk_add_f32 v[46:47], v[46:47], v[42:43]
	v_pk_fma_f32 v[42:43], v[146:147], s[48:49], v[48:49] op_sel_hi:[1,0,1]
	v_pk_fma_f32 v[48:49], v[146:147], s[48:49], v[48:49] op_sel_hi:[1,0,1] neg_lo:[0,0,1] neg_hi:[0,0,1]
	v_pk_mul_f32 v[56:57], v[160:161], s[20:21] op_sel:[1,0] op_sel_hi:[0,0]
	v_mov_b32_e32 v35, v49
	v_mov_b32_e32 v49, v43
	v_pk_add_f32 v[48:49], v[48:49], v[46:47]
	v_mov_b32_e32 v43, v51
	v_mov_b32_e32 v51, v1
	v_pk_add_f32 v[50:51], v[50:51], v[48:49]
	v_pk_fma_f32 v[48:49], v[168:169], s[50:51], v[52:53] op_sel_hi:[1,0,1]
	v_pk_fma_f32 v[52:53], v[168:169], s[50:51], v[52:53] op_sel_hi:[1,0,1] neg_lo:[0,0,1] neg_hi:[0,0,1]
	v_pk_mul_f32 v[58:59], v[142:143], s[18:19] op_sel:[1,0] op_sel_hi:[0,0]
	v_mov_b32_e32 v45, v53
	v_mov_b32_e32 v53, v49
	v_pk_add_f32 v[52:53], v[52:53], v[50:51]
	v_pk_fma_f32 v[50:51], v[156:157], s[58:59], v[56:57] op_sel_hi:[1,0,1]
	v_pk_fma_f32 v[56:57], v[156:157], s[58:59], v[56:57] op_sel_hi:[1,0,1] neg_lo:[0,0,1] neg_hi:[0,0,1]
	v_accvgpr_write_b32 a36, v0
	v_mov_b32_e32 v49, v57
	v_mov_b32_e32 v57, v51
	v_pk_add_f32 v[56:57], v[56:57], v[52:53]
	v_pk_fma_f32 v[52:53], v[82:83], s[54:55], v[58:59] op_sel_hi:[1,0,1]
	v_pk_fma_f32 v[58:59], v[82:83], s[54:55], v[58:59] op_sel_hi:[1,0,1] neg_lo:[0,0,1] neg_hi:[0,0,1]
	v_mul_u32_u24_e32 v0, 0x121, v36
	v_mov_b32_e32 v51, v59
	v_mov_b32_e32 v59, v53
	v_pk_add_f32 v[56:57], v[58:59], v[56:57]
	v_add_lshl_u32 v24, v0, v40, 3
	s_waitcnt lgkmcnt(0)
	; wave barrier
	ds_write2_b64 v24, v[54:55], v[56:57] offset1:17
	v_pk_mul_f32 v[54:55], v[150:151], s[22:23] op_sel:[1,0] op_sel_hi:[0,0]
	v_pk_fma_f32 v[0:1], v[144:145], s[46:47], v[54:55] op_sel_hi:[1,0,1] neg_lo:[0,0,1] neg_hi:[0,0,1]
	v_pk_fma_f32 v[60:61], v[144:145], s[46:47], v[54:55] op_sel_hi:[1,0,1]
	v_pk_mul_f32 v[56:57], v[134:135], s[16:17] op_sel:[1,0] op_sel_hi:[0,0]
	v_mov_b32_e32 v54, v0
	v_mov_b32_e32 v55, v61
	v_pk_fma_f32 v[62:63], v[78:79], s[48:49], v[56:57] op_sel_hi:[1,0,1] neg_lo:[0,0,1] neg_hi:[0,0,1]
	v_pk_fma_f32 v[56:57], v[78:79], s[48:49], v[56:57] op_sel_hi:[1,0,1]
	v_accvgpr_write_b32 a78, v29
	v_pk_add_f32 v[58:59], v[32:33], v[54:55]
	v_mov_b32_e32 v29, v63
	v_mov_b32_e32 v63, v57
	v_pk_add_f32 v[64:65], v[62:63], v[58:59]
	v_pk_mul_f32 v[58:59], v[174:175], s[12:13] op_sel:[1,0] op_sel_hi:[0,0]
	v_pk_fma_f32 v[66:67], v[166:167], s[50:51], v[58:59] op_sel_hi:[1,0,1] neg_lo:[0,0,1] neg_hi:[0,0,1]
	v_pk_fma_f32 v[62:63], v[166:167], s[50:51], v[58:59] op_sel_hi:[1,0,1]
	v_mov_b32_e32 v59, v67
	v_mov_b32_e32 v67, v63
	v_pk_add_f32 v[64:65], v[66:67], v[64:65]
	v_pk_mul_f32 v[66:67], v[152:153], s[18:19] op_sel:[1,0] op_sel_hi:[0,0]
	v_mov_b32_e32 v105, v1
	v_pk_fma_f32 v[70:71], v[146:147], s[54:55], v[66:67] op_sel_hi:[1,0,1] neg_lo:[0,0,1] neg_hi:[0,0,1]
	v_pk_fma_f32 v[0:1], v[146:147], s[54:55], v[66:67] op_sel_hi:[1,0,1]
	v_mov_b32_e32 v53, v71
	v_mov_b32_e32 v71, v1
	v_pk_add_f32 v[64:65], v[70:71], v[64:65]
	v_pk_mul_f32 v[70:71], v[136:137], s[36:37] op_sel:[1,0] op_sel_hi:[0,0]
	v_accvgpr_write_b32 a38, v0
	v_pk_fma_f32 v[74:75], v[80:81], s[58:59], v[70:71] op_sel_hi:[1,0,1] neg_lo:[0,0,1] neg_hi:[0,0,1]
	v_pk_fma_f32 v[0:1], v[80:81], s[58:59], v[70:71] op_sel_hi:[1,0,1]
	v_mov_b32_e32 v63, v75
	v_mov_b32_e32 v75, v1
	v_pk_add_f32 v[74:75], v[74:75], v[64:65]
	v_pk_mul_f32 v[64:65], v[176:177], s[34:35] op_sel:[1,0] op_sel_hi:[0,0]
	v_pk_fma_f32 v[76:77], v[168:169], s[56:57], v[64:65] op_sel_hi:[1,0,1] neg_lo:[0,0,1] neg_hi:[0,0,1]
	v_pk_fma_f32 v[70:71], v[168:169], s[56:57], v[64:65] op_sel_hi:[1,0,1]
	v_mov_b32_e32 v65, v77
	v_mov_b32_e32 v77, v71
	v_pk_add_f32 v[76:77], v[76:77], v[74:75]
	v_pk_mul_f32 v[74:75], v[160:161], s[28:29] op_sel:[1,0] op_sel_hi:[0,0]
	;; [unrolled: 6-line block ×3, first 2 shown]
	v_accvgpr_write_b32 a44, v0
	v_pk_fma_f32 v[88:89], v[82:83], s[44:45], v[76:77] op_sel_hi:[1,0,1] neg_lo:[0,0,1] neg_hi:[0,0,1]
	v_pk_fma_f32 v[0:1], v[82:83], s[44:45], v[76:77] op_sel_hi:[1,0,1]
	v_mov_b32_e32 v75, v89
	v_mov_b32_e32 v89, v1
	v_pk_add_f32 v[86:87], v[88:89], v[86:87]
	v_pk_mul_f32 v[88:89], v[150:151], s[26:27] op_sel:[1,0] op_sel_hi:[0,0]
	v_pk_fma_f32 v[76:77], v[144:145], s[52:53], v[88:89] op_sel_hi:[1,0,1] neg_lo:[0,0,1] neg_hi:[0,0,1]
	v_pk_fma_f32 v[184:185], v[144:145], s[52:53], v[88:89] op_sel_hi:[1,0,1]
	v_pk_mul_f32 v[90:91], v[134:135], s[12:13] op_sel:[1,0] op_sel_hi:[0,0]
	v_accvgpr_write_b32 a46, v0
	v_mov_b32_e32 v88, v76
	v_mov_b32_e32 v89, v185
	v_pk_fma_f32 v[0:1], v[78:79], s[50:51], v[90:91] op_sel_hi:[1,0,1] neg_lo:[0,0,1] neg_hi:[0,0,1]
	v_pk_fma_f32 v[140:141], v[78:79], s[50:51], v[90:91] op_sel_hi:[1,0,1]
	v_pk_add_f32 v[88:89], v[32:33], v[88:89]
	v_mov_b32_e32 v90, v0
	v_mov_b32_e32 v91, v141
	v_pk_add_f32 v[88:89], v[90:91], v[88:89]
	v_pk_mul_f32 v[90:91], v[174:175], s[42:43] op_sel:[1,0] op_sel_hi:[0,0]
	v_pk_fma_f32 v[158:159], v[166:167], s[54:55], v[90:91] op_sel_hi:[1,0,1] neg_lo:[0,0,1] neg_hi:[0,0,1]
	v_pk_fma_f32 v[148:149], v[166:167], s[54:55], v[90:91] op_sel_hi:[1,0,1]
	v_mov_b32_e32 v90, v158
	v_mov_b32_e32 v91, v149
	v_pk_add_f32 v[88:89], v[90:91], v[88:89]
	v_pk_mul_f32 v[90:91], v[152:153], s[34:35] op_sel:[1,0] op_sel_hi:[0,0]
	v_pk_fma_f32 v[162:163], v[146:147], s[56:57], v[90:91] op_sel_hi:[1,0,1] neg_lo:[0,0,1] neg_hi:[0,0,1]
	v_pk_fma_f32 v[154:155], v[146:147], s[56:57], v[90:91] op_sel_hi:[1,0,1]
	;; [unrolled: 6-line block ×6, first 2 shown]
	v_mov_b32_e32 v90, v190
	v_mov_b32_e32 v91, v181
	v_pk_add_f32 v[88:89], v[90:91], v[88:89]
	ds_write2_b64 v24, v[86:87], v[88:89] offset0:34 offset1:51
	v_pk_mul_f32 v[86:87], v[150:151], s[16:17] op_sel:[1,0] op_sel_hi:[0,0]
	v_pk_fma_f32 v[194:195], v[144:145], s[48:49], v[86:87] op_sel_hi:[1,0,1] neg_lo:[0,0,1] neg_hi:[0,0,1]
	v_pk_fma_f32 v[192:193], v[144:145], s[48:49], v[86:87] op_sel_hi:[1,0,1]
	v_pk_mul_f32 v[88:89], v[134:135], s[18:19] op_sel:[1,0] op_sel_hi:[0,0]
	v_mov_b32_e32 v86, v194
	v_mov_b32_e32 v87, v193
	v_pk_fma_f32 v[198:199], v[78:79], s[54:55], v[88:89] op_sel_hi:[1,0,1] neg_lo:[0,0,1] neg_hi:[0,0,1]
	v_pk_fma_f32 v[196:197], v[78:79], s[54:55], v[88:89] op_sel_hi:[1,0,1]
	v_pk_add_f32 v[86:87], v[32:33], v[86:87]
	v_mov_b32_e32 v88, v198
	v_mov_b32_e32 v89, v197
	v_pk_add_f32 v[86:87], v[88:89], v[86:87]
	v_pk_mul_f32 v[88:89], v[174:175], s[34:35] op_sel:[1,0] op_sel_hi:[0,0]
	v_pk_fma_f32 v[68:69], v[166:167], s[56:57], v[88:89] op_sel_hi:[1,0,1] neg_lo:[0,0,1] neg_hi:[0,0,1]
	v_pk_fma_f32 v[200:201], v[166:167], s[56:57], v[88:89] op_sel_hi:[1,0,1]
	v_mov_b32_e32 v88, v68
	v_mov_b32_e32 v89, v201
	v_pk_add_f32 v[86:87], v[88:89], v[86:87]
	v_pk_mul_f32 v[88:89], v[152:153], s[24:25] op_sel:[1,0] op_sel_hi:[0,0]
	v_pk_fma_f32 v[72:73], v[146:147], s[44:45], v[88:89] op_sel_hi:[1,0,1] neg_lo:[0,0,1] neg_hi:[0,0,1]
	v_pk_fma_f32 v[202:203], v[146:147], s[44:45], v[88:89] op_sel_hi:[1,0,1]
	;; [unrolled: 6-line block ×14, first 2 shown]
	v_mov_b32_e32 v122, v120
	v_mov_b32_e32 v123, v115
	v_pk_add_f32 v[106:107], v[122:123], v[106:107]
	ds_write2_b64 v24, v[100:101], v[106:107] offset0:68 offset1:85
	v_pk_mul_f32 v[100:101], v[150:151], s[12:13] op_sel:[1,0] op_sel_hi:[0,0]
	v_pk_fma_f32 v[106:107], v[144:145], s[50:51], v[100:101] op_sel_hi:[1,0,1] neg_lo:[0,0,1] neg_hi:[0,0,1]
	v_pk_fma_f32 v[100:101], v[144:145], s[50:51], v[100:101] op_sel_hi:[1,0,1]
	v_pk_mul_f32 v[124:125], v[134:135], s[34:35] op_sel:[1,0] op_sel_hi:[0,0]
	v_mov_b32_e32 v122, v106
	v_mov_b32_e32 v123, v101
	v_pk_fma_f32 v[126:127], v[78:79], s[56:57], v[124:125] op_sel_hi:[1,0,1] neg_lo:[0,0,1] neg_hi:[0,0,1]
	v_pk_fma_f32 v[124:125], v[78:79], s[56:57], v[124:125] op_sel_hi:[1,0,1]
	v_pk_add_f32 v[122:123], v[32:33], v[122:123]
	v_mov_b32_e32 v128, v126
	v_mov_b32_e32 v129, v125
	v_pk_add_f32 v[122:123], v[128:129], v[122:123]
	v_pk_mul_f32 v[128:129], v[174:175], s[2:3] op_sel:[1,0] op_sel_hi:[0,0]
	v_pk_fma_f32 v[130:131], v[166:167], s[44:45], v[128:129] op_sel_hi:[1,0,1] neg_lo:[0,0,1] neg_hi:[0,0,1]
	v_pk_fma_f32 v[128:129], v[166:167], s[44:45], v[128:129] op_sel_hi:[1,0,1]
	v_mov_b32_e32 v132, v130
	v_mov_b32_e32 v133, v129
	v_pk_add_f32 v[122:123], v[132:133], v[122:123]
	v_pk_mul_f32 v[132:133], v[152:153], s[20:21] op_sel:[1,0] op_sel_hi:[0,0]
	v_pk_fma_f32 v[224:225], v[146:147], s[58:59], v[132:133] op_sel_hi:[1,0,1] neg_lo:[0,0,1] neg_hi:[0,0,1]
	v_pk_fma_f32 v[132:133], v[146:147], s[58:59], v[132:133] op_sel_hi:[1,0,1]
	;; [unrolled: 6-line block ×7, first 2 shown]
	v_pk_mul_f32 v[248:249], v[134:135], s[28:29] op_sel:[1,0] op_sel_hi:[0,0]
	v_mov_b32_e32 v246, v244
	v_mov_b32_e32 v247, v243
	v_pk_fma_f32 v[250:251], v[78:79], s[52:53], v[248:249] op_sel_hi:[1,0,1] neg_lo:[0,0,1] neg_hi:[0,0,1]
	v_pk_fma_f32 v[248:249], v[78:79], s[52:53], v[248:249] op_sel_hi:[1,0,1]
	v_pk_add_f32 v[246:247], v[32:33], v[246:247]
	v_mov_b32_e32 v252, v250
	v_mov_b32_e32 v253, v249
	v_pk_add_f32 v[246:247], v[252:253], v[246:247]
	v_pk_mul_f32 v[252:253], v[174:175], s[16:17] op_sel:[1,0] op_sel_hi:[0,0]
	v_accvgpr_write_b32 a72, v119
	v_mov_b32_e32 v119, v1
	v_pk_fma_f32 v[0:1], v[166:167], s[48:49], v[252:253] op_sel_hi:[1,0,1] neg_lo:[0,0,1] neg_hi:[0,0,1]
	v_pk_fma_f32 v[252:253], v[166:167], s[48:49], v[252:253] op_sel_hi:[1,0,1]
	v_accvgpr_write_b32 a43, v5
	v_mov_b32_e32 v254, v0
	v_mov_b32_e32 v255, v253
	v_accvgpr_write_b32 a57, v9
	v_accvgpr_write_b32 a42, v4
	;; [unrolled: 1-line block ×4, first 2 shown]
	v_pk_add_f32 v[2:3], v[254:255], v[246:247]
	v_pk_mul_f32 v[246:247], v[152:153], s[38:39] op_sel:[1,0] op_sel_hi:[0,0]
	v_accvgpr_write_b32 a56, v8
	v_accvgpr_write_b32 a55, v7
	;; [unrolled: 1-line block ×3, first 2 shown]
	v_pk_fma_f32 v[4:5], v[146:147], s[50:51], v[246:247] op_sel_hi:[1,0,1] neg_lo:[0,0,1] neg_hi:[0,0,1]
	v_pk_fma_f32 v[246:247], v[146:147], s[50:51], v[246:247] op_sel_hi:[1,0,1]
	v_pk_mul_f32 v[6:7], v[136:137], s[2:3] op_sel:[1,0] op_sel_hi:[0,0]
	v_mov_b32_e32 v254, v4
	v_mov_b32_e32 v255, v247
	v_pk_fma_f32 v[16:17], v[80:81], s[44:45], v[6:7] op_sel_hi:[1,0,1] neg_lo:[0,0,1] neg_hi:[0,0,1]
	v_pk_fma_f32 v[6:7], v[80:81], s[44:45], v[6:7] op_sel_hi:[1,0,1]
	v_pk_mul_f32 v[18:19], v[176:177], s[18:19] op_sel:[1,0] op_sel_hi:[0,0]
	v_accvgpr_write_b32 a61, v13
	v_pk_add_f32 v[2:3], v[254:255], v[2:3]
	v_mov_b32_e32 v254, v16
	v_mov_b32_e32 v255, v7
	v_pk_fma_f32 v[20:21], v[168:169], s[54:55], v[18:19] op_sel_hi:[1,0,1] neg_lo:[0,0,1] neg_hi:[0,0,1]
	v_pk_fma_f32 v[18:19], v[168:169], s[54:55], v[18:19] op_sel_hi:[1,0,1]
	v_pk_mul_f32 v[22:23], v[160:161], s[30:31] op_sel:[1,0] op_sel_hi:[0,0]
	v_accvgpr_write_b32 a60, v12
	v_accvgpr_write_b32 a59, v11
	;; [unrolled: 1-line block ×3, first 2 shown]
	v_pk_add_f32 v[2:3], v[254:255], v[2:3]
	v_mov_b32_e32 v254, v20
	v_mov_b32_e32 v255, v19
	v_pk_fma_f32 v[8:9], v[156:157], s[46:47], v[22:23] op_sel_hi:[1,0,1] neg_lo:[0,0,1] neg_hi:[0,0,1]
	v_pk_fma_f32 v[22:23], v[156:157], s[46:47], v[22:23] op_sel_hi:[1,0,1]
	v_pk_mul_f32 v[10:11], v[142:143], s[14:15] op_sel:[1,0] op_sel_hi:[0,0]
	v_pk_add_f32 v[2:3], v[254:255], v[2:3]
	v_mov_b32_e32 v254, v8
	v_mov_b32_e32 v255, v23
	v_pk_fma_f32 v[12:13], v[82:83], s[56:57], v[10:11] op_sel_hi:[1,0,1] neg_lo:[0,0,1] neg_hi:[0,0,1]
	v_pk_fma_f32 v[10:11], v[82:83], s[56:57], v[10:11] op_sel_hi:[1,0,1]
	v_pk_add_f32 v[2:3], v[254:255], v[2:3]
	v_mov_b32_e32 v254, v12
	v_mov_b32_e32 v255, v11
	v_pk_add_f32 v[2:3], v[254:255], v[2:3]
	ds_write2_b64 v24, v[122:123], v[2:3] offset0:102 offset1:119
	v_pk_mul_f32 v[122:123], v[160:161], s[14:15] op_sel:[1,0] op_sel_hi:[0,0]
	v_pk_mul_f32 v[2:3], v[176:177], s[28:29] op_sel:[1,0] op_sel_hi:[0,0]
	v_pk_fma_f32 v[160:161], v[156:157], s[56:57], v[122:123] op_sel_hi:[1,0,1] neg_lo:[0,0,1] neg_hi:[0,0,1]
	v_pk_fma_f32 v[122:123], v[156:157], s[56:57], v[122:123] op_sel_hi:[1,0,1]
	v_pk_mul_f32 v[156:157], v[174:175], s[20:21] op_sel:[1,0] op_sel_hi:[0,0]
	v_pk_mul_f32 v[142:143], v[142:143], s[40:41] op_sel:[1,0] op_sel_hi:[0,0]
	v_pk_fma_f32 v[14:15], v[168:169], s[52:53], v[2:3] op_sel_hi:[1,0,1] neg_lo:[0,0,1] neg_hi:[0,0,1]
	v_pk_fma_f32 v[2:3], v[168:169], s[52:53], v[2:3] op_sel_hi:[1,0,1]
	v_pk_fma_f32 v[168:169], v[166:167], s[58:59], v[156:157] op_sel_hi:[1,0,1] neg_lo:[0,0,1] neg_hi:[0,0,1]
	v_pk_fma_f32 v[156:157], v[166:167], s[58:59], v[156:157] op_sel_hi:[1,0,1]
	;; [unrolled: 2-line block ×3, first 2 shown]
	v_pk_mul_f32 v[142:143], v[152:153], s[30:31] op_sel:[1,0] op_sel_hi:[0,0]
	v_pk_mul_f32 v[136:137], v[136:137], s[12:13] op_sel:[1,0] op_sel_hi:[0,0]
	v_pk_fma_f32 v[152:153], v[146:147], s[46:47], v[142:143] op_sel_hi:[1,0,1] neg_lo:[0,0,1] neg_hi:[0,0,1]
	v_pk_fma_f32 v[142:143], v[146:147], s[46:47], v[142:143] op_sel_hi:[1,0,1]
	v_pk_fma_f32 v[146:147], v[80:81], s[50:51], v[136:137] op_sel_hi:[1,0,1] neg_lo:[0,0,1] neg_hi:[0,0,1]
	v_pk_fma_f32 v[80:81], v[80:81], s[50:51], v[136:137] op_sel_hi:[1,0,1]
	v_pk_mul_f32 v[136:137], v[150:151], s[18:19] op_sel:[1,0] op_sel_hi:[0,0]
	v_pk_fma_f32 v[150:151], v[144:145], s[54:55], v[136:137] op_sel_hi:[1,0,1] neg_lo:[0,0,1] neg_hi:[0,0,1]
	v_pk_fma_f32 v[136:137], v[144:145], s[54:55], v[136:137] op_sel_hi:[1,0,1]
	v_pk_mul_f32 v[134:135], v[134:135], s[24:25] op_sel:[1,0] op_sel_hi:[0,0]
	v_pk_fma_f32 v[144:145], v[78:79], s[44:45], v[134:135] op_sel_hi:[1,0,1] neg_lo:[0,0,1] neg_hi:[0,0,1]
	v_pk_fma_f32 v[78:79], v[78:79], s[44:45], v[134:135] op_sel_hi:[1,0,1]
	v_mov_b32_e32 v134, v150
	v_mov_b32_e32 v135, v137
	v_pk_add_f32 v[134:135], v[32:33], v[134:135]
	v_mov_b32_e32 v174, v144
	v_mov_b32_e32 v175, v79
	v_pk_add_f32 v[134:135], v[174:175], v[134:135]
	;; [unrolled: 3-line block ×4, first 2 shown]
	v_mov_b32_e32 v174, v146
	v_mov_b32_e32 v175, v81
	;; [unrolled: 1-line block ×3, first 2 shown]
	v_pk_add_f32 v[134:135], v[174:175], v[134:135]
	v_mov_b32_e32 v174, v14
	v_mov_b32_e32 v175, v3
	;; [unrolled: 1-line block ×4, first 2 shown]
	v_pk_add_f32 v[14:15], v[32:33], v[136:137]
	v_mov_b32_e32 v157, v169
	v_pk_add_f32 v[14:15], v[78:79], v[14:15]
	v_mov_b32_e32 v143, v153
	v_pk_add_f32 v[14:15], v[156:157], v[14:15]
	v_mov_b32_e32 v81, v147
	v_pk_add_f32 v[14:15], v[142:143], v[14:15]
	v_pk_add_f32 v[134:135], v[174:175], v[134:135]
	;; [unrolled: 1-line block ×3, first 2 shown]
	v_mov_b32_e32 v174, v160
	v_mov_b32_e32 v175, v123
	;; [unrolled: 1-line block ×3, first 2 shown]
	v_pk_add_f32 v[2:3], v[2:3], v[14:15]
	v_pk_add_f32 v[134:135], v[174:175], v[134:135]
	v_mov_b32_e32 v174, v166
	v_mov_b32_e32 v175, v83
	;; [unrolled: 1-line block ×3, first 2 shown]
	v_pk_add_f32 v[2:3], v[122:123], v[2:3]
	v_pk_add_f32 v[134:135], v[174:175], v[134:135]
	;; [unrolled: 1-line block ×3, first 2 shown]
	v_mov_b32_e32 v243, v245
	v_mov_b32_e32 v101, v107
	ds_write2_b64 v24, v[134:135], v[2:3] offset0:136 offset1:153
	v_mov_b32_e32 v253, v1
	v_mov_b32_e32 v249, v251
	v_pk_add_f32 v[0:1], v[32:33], v[242:243]
	v_mov_b32_e32 v125, v127
	v_pk_add_f32 v[2:3], v[32:33], v[100:101]
	v_pk_add_f32 v[0:1], v[248:249], v[0:1]
	v_mov_b32_e32 v129, v131
	v_pk_add_f32 v[2:3], v[124:125], v[2:3]
	v_mov_b32_e32 v247, v5
	;; [unrolled: 2-line block ×11, first 2 shown]
	v_pk_add_f32 v[2:3], v[234:235], v[2:3]
	v_pk_add_f32 v[0:1], v[10:11], v[0:1]
	;; [unrolled: 1-line block ×3, first 2 shown]
	v_mov_b32_e32 v87, v89
	v_mov_b32_e32 v193, v195
	ds_write2_b64 v24, v[0:1], v[2:3] offset0:170 offset1:187
	v_mov_b32_e32 v91, v93
	v_pk_add_f32 v[0:1], v[32:33], v[86:87]
	v_mov_b32_e32 v197, v199
	v_pk_add_f32 v[2:3], v[32:33], v[192:193]
	;; [unrolled: 2-line block ×14, first 2 shown]
	v_pk_add_f32 v[0:1], v[114:115], v[0:1]
	v_pk_add_f32 v[2:3], v[216:217], v[2:3]
	v_mov_b32_e32 v36, v38
	ds_write2_b64 v24, v[0:1], v[2:3] offset0:204 offset1:221
	v_pk_add_f32 v[0:1], v[32:33], v[36:37]
	v_mov_b32_e32 v38, v34
	v_mov_b32_e32 v40, v44
	v_pk_add_f32 v[0:1], v[38:39], v[0:1]
	v_mov_b32_e32 v34, v42
	v_pk_add_f32 v[0:1], v[40:41], v[0:1]
	v_accvgpr_read_b32 v42, a36
	v_pk_add_f32 v[0:1], v[34:35], v[0:1]
	v_mov_b32_e32 v44, v48
	v_pk_add_f32 v[0:1], v[42:43], v[0:1]
	v_mov_b32_e32 v61, v105
	v_mov_b32_e32 v48, v50
	v_pk_add_f32 v[0:1], v[44:45], v[0:1]
	v_pk_add_f32 v[2:3], v[32:33], v[60:61]
	v_mov_b32_e32 v50, v52
	v_pk_add_f32 v[0:1], v[48:49], v[0:1]
	v_mov_b32_e32 v57, v29
	v_mov_b32_e32 v58, v62
	v_pk_add_f32 v[90:91], v[50:51], v[0:1]
	v_pk_add_f32 v[0:1], v[56:57], v[2:3]
	v_accvgpr_read_b32 v52, a38
	v_pk_add_f32 v[0:1], v[58:59], v[0:1]
	v_accvgpr_read_b32 v62, a44
	v_pk_add_f32 v[0:1], v[52:53], v[0:1]
	v_mov_b32_e32 v64, v70
	v_pk_add_f32 v[0:1], v[62:63], v[0:1]
	v_mov_b32_e32 v185, v77
	v_mov_b32_e32 v70, v74
	v_pk_add_f32 v[0:1], v[64:65], v[0:1]
	v_pk_add_f32 v[4:5], v[32:33], v[184:185]
	v_accvgpr_read_b32 v74, a46
	v_pk_add_f32 v[0:1], v[70:71], v[0:1]
	v_mov_b32_e32 v141, v119
	v_pk_add_f32 v[86:87], v[74:75], v[0:1]
	v_mov_b32_e32 v149, v159
	;; [unrolled: 2-line block ×7, first 2 shown]
	v_pk_add_f32 v[0:1], v[178:179], v[0:1]
	v_accvgpr_read_b32 v18, a19
	v_pk_add_f32 v[0:1], v[180:181], v[0:1]
	ds_write2_b64 v24, v[0:1], v[86:87] offset0:238 offset1:255
	ds_write_b64 v24, v[90:91] offset:2176
	s_waitcnt lgkmcnt(0)
	; wave barrier
	s_waitcnt lgkmcnt(0)
	v_add_u32_e32 v0, 0x400, v84
	ds_read_b64 v[88:89], v84 offset:6256
	ds_read2_b64 v[56:59], v0 offset0:76 offset1:161
	ds_read2_b64 v[76:79], v84 offset1:51
	ds_read2_b64 v[80:83], v18 offset0:66 offset1:117
	ds_read2_b64 v[72:75], v25 offset0:84 offset1:135
	;; [unrolled: 1-line block ×5, first 2 shown]
	s_load_dwordx2 s[2:3], s[0:1], 0x38
	v_accvgpr_read_b32 v17, a95             ;  Reload Reuse
	v_accvgpr_write_b32 a66, v186
	v_accvgpr_write_b32 a64, v28
	;; [unrolled: 1-line block ×4, first 2 shown]
	v_accvgpr_read_b32 v16, a97             ;  Reload Reuse
	v_accvgpr_write_b32 a67, v187
	v_accvgpr_write_b32 a63, v27
	;; [unrolled: 1-line block ×6, first 2 shown]
	v_mov_b32_e32 v85, v25
	v_accvgpr_write_b32 a68, v188
	v_accvgpr_write_b32 a62, v26
	v_accvgpr_write_b32 a52, v104
	v_accvgpr_write_b32 a46, v118
	v_accvgpr_write_b32 a19, v24
	v_cmp_gt_u16_e32 vcc, 34, v16
	v_accvgpr_mov_b32 a126, a67
	v_accvgpr_mov_b32 a128, a63
	;; [unrolled: 1-line block ×4, first 2 shown]
                                        ; implicit-def: $vgpr92
                                        ; implicit-def: $vgpr94
	s_and_saveexec_b64 s[0:1], vcc
	s_cbranch_execz .LBB0_3
; %bb.2:
	ds_read_b64 v[92:93], v84 offset:6664
	ds_read_b64 v[86:87], v84 offset:2040
	;; [unrolled: 1-line block ×3, first 2 shown]
	s_waitcnt lgkmcnt(0)
	v_mov_b32_e32 v94, v93
.LBB0_3:
	s_or_b64 exec, exec, s[0:1]
	v_lshlrev_b32_e32 v0, 4, v16
	v_add_u32_e32 v1, 0x330, v0
	global_load_dwordx4 v[8:11], v0, s[10:11] offset:2176
	global_load_dwordx4 v[36:39], v1, s[10:11] offset:2176
	v_add_u32_e32 v1, 0x660, v0
	s_movk_i32 s12, 0xffde
	global_load_dwordx4 v[32:35], v1, s[10:11] offset:2176
	v_add_u32_e32 v1, 0x990, v0
	v_add_u32_e32 v0, 0xcc0, v0
	s_mov_b64 s[0:1], 0xff
	s_mov_b32 s13, -1
	global_load_dwordx4 v[28:31], v1, s[10:11] offset:2176
	global_load_dwordx4 v[24:27], v0, s[10:11] offset:2176
	v_lshl_add_u64 v[0:1], v[16:17], 0, s[0:1]
	v_lshl_add_u64 v[2:3], v[16:17], 0, s[12:13]
	v_cndmask_b32_e32 v1, v3, v1, vcc
	v_cndmask_b32_e32 v0, v2, v0, vcc
	v_lshl_add_u64 v[0:1], v[0:1], 4, s[10:11]
	global_load_dwordx4 v[20:23], v[0:1], off offset:2176
	s_mov_b32 s0, 0x3f5db3d7
	v_accvgpr_mov_b32 a71, a70
	v_accvgpr_mov_b32 a73, a72
	;; [unrolled: 1-line block ×7, first 2 shown]
	v_mov_b32_e32 v209, v208
	v_accvgpr_write_b32 a36, v206
	v_accvgpr_mov_b32 a74, a70
	v_accvgpr_mov_b32 a76, a72
	;; [unrolled: 1-line block ×5, first 2 shown]
	v_accvgpr_write_b32 a37, v207
	v_accvgpr_write_b32 a38, v208
	;; [unrolled: 1-line block ×3, first 2 shown]
	v_accvgpr_mov_b32 a45, a44
	v_accvgpr_mov_b32 a133, a132
	;; [unrolled: 1-line block ×15, first 2 shown]
	s_waitcnt vmcnt(5)
	v_mov_b32_e32 v4, v11
	s_waitcnt lgkmcnt(0)
	v_pk_mul_f32 v[0:1], v[58:59], v[8:9] op_sel:[0,1]
	s_waitcnt vmcnt(4)
	v_mov_b32_e32 v12, v39
	v_pk_fma_f32 v[2:3], v[58:59], v[8:9], v[0:1] op_sel:[0,0,1] op_sel_hi:[1,1,0] neg_lo:[0,0,1] neg_hi:[0,0,1]
	v_pk_fma_f32 v[0:1], v[58:59], v[8:9], v[0:1] op_sel:[0,0,1] op_sel_hi:[1,0,0]
	v_pk_mul_f32 v[4:5], v[80:81], v[4:5] op_sel_hi:[1,0]
	v_pk_mul_f32 v[6:7], v[72:73], v[36:37] op_sel:[0,1]
	v_accvgpr_write_b32 a108, v9
	v_accvgpr_write_b32 a106, v11
	v_mov_b32_e32 v3, v1
	v_pk_fma_f32 v[0:1], v[80:81], v[10:11], v[4:5] op_sel:[0,0,1] op_sel_hi:[1,1,0] neg_lo:[0,0,1] neg_hi:[0,0,1]
	v_accvgpr_write_b32 a98, v8
	v_accvgpr_write_b32 a100, v10
	v_pk_fma_f32 v[4:5], v[80:81], v[10:11], v[4:5] op_sel:[0,0,1] op_sel_hi:[1,0,0]
	v_pk_fma_f32 v[8:9], v[72:73], v[36:37], v[6:7] op_sel:[0,0,1] op_sel_hi:[1,1,0] neg_lo:[0,0,1] neg_hi:[0,0,1]
	v_pk_fma_f32 v[6:7], v[72:73], v[36:37], v[6:7] op_sel:[0,0,1] op_sel_hi:[1,0,0]
	v_pk_mul_f32 v[10:11], v[82:83], v[12:13] op_sel_hi:[1,0]
	s_waitcnt vmcnt(0)
	v_pk_mul_f32 v[12:13], v[90:91], v[20:21] op_sel:[1,0]
	v_pk_mul_f32 v[14:15], v[94:95], v[22:23] op_sel_hi:[0,1]
	v_mov_b32_e32 v1, v5
	v_pk_add_f32 v[4:5], v[76:77], v[2:3]
	v_mov_b32_e32 v9, v7
	v_pk_fma_f32 v[6:7], v[90:91], v[20:21], v[12:13] op_sel:[0,0,1] op_sel_hi:[0,1,0]
	v_pk_fma_f32 v[58:59], v[90:91], v[20:21], v[12:13] op_sel:[0,0,1] op_sel_hi:[0,1,0] neg_lo:[0,0,1] neg_hi:[0,0,1]
	v_pk_fma_f32 v[12:13], v[92:93], v[22:23], v[14:15] op_sel:[0,0,1] op_sel_hi:[0,1,0]
	v_pk_fma_f32 v[72:73], v[92:93], v[22:23], v[14:15] op_sel:[0,0,1] op_sel_hi:[0,1,0] neg_lo:[0,0,1] neg_hi:[0,0,1]
	v_pk_add_f32 v[4:5], v[4:5], v[0:1]
	v_pk_add_f32 v[14:15], v[2:3], v[0:1]
	v_pk_add_f32 v[0:1], v[2:3], v[0:1] neg_lo:[0,1] neg_hi:[0,1]
	v_mov_b32_e32 v59, v7
	v_mov_b32_e32 v73, v13
	v_pk_fma_f32 v[2:3], v[14:15], 0.5, v[76:77] op_sel_hi:[1,0,1] neg_lo:[1,0,0] neg_hi:[1,0,0]
	v_pk_mul_f32 v[0:1], v[0:1], s[0:1] op_sel_hi:[1,0]
	v_pk_add_f32 v[6:7], v[58:59], v[72:73]
	v_pk_add_f32 v[12:13], v[58:59], v[72:73] neg_lo:[0,1] neg_hi:[0,1]
	v_pk_add_f32 v[14:15], v[2:3], v[0:1] op_sel:[0,1] op_sel_hi:[1,0]
	v_pk_add_f32 v[0:1], v[2:3], v[0:1] op_sel:[0,1] op_sel_hi:[1,0] neg_lo:[0,1] neg_hi:[0,1]
	v_pk_fma_f32 v[2:3], v[6:7], 0.5, v[86:87] op_sel_hi:[1,0,1] neg_lo:[1,0,0] neg_hi:[1,0,0]
	v_pk_mul_f32 v[6:7], v[12:13], s[0:1] op_sel_hi:[1,0]
	v_mov_b32_e32 v12, v14
	v_mov_b32_e32 v13, v1
	;; [unrolled: 1-line block ×3, first 2 shown]
	v_pk_add_f32 v[76:77], v[2:3], v[6:7] op_sel:[0,1] op_sel_hi:[1,0]
	v_pk_add_f32 v[80:81], v[2:3], v[6:7] op_sel:[0,1] op_sel_hi:[1,0] neg_lo:[0,1] neg_hi:[0,1]
	ds_write_b64 v84, v[12:13] offset:2312
	ds_write_b64 v84, v[0:1] offset:4624
	v_mov_b32_e32 v1, v77
	v_mov_b32_e32 v0, v80
	v_accvgpr_write_b32 a105, v1
	v_accvgpr_write_b32 a104, v0
	v_pk_fma_f32 v[0:1], v[82:83], v[38:39], v[10:11] op_sel:[0,0,1] op_sel_hi:[1,1,0] neg_lo:[0,0,1] neg_hi:[0,0,1]
	v_pk_fma_f32 v[2:3], v[82:83], v[38:39], v[10:11] op_sel:[0,0,1] op_sel_hi:[1,0,0]
	v_mov_b32_e32 v40, v35
	v_mov_b32_e32 v1, v3
	v_pk_add_f32 v[2:3], v[78:79], v[8:9]
	v_mov_b32_e32 v42, v31
	v_pk_add_f32 v[2:3], v[2:3], v[0:1]
	ds_write2_b64 v84, v[4:5], v[2:3] offset1:51
	v_pk_add_f32 v[2:3], v[8:9], v[0:1]
	v_pk_add_f32 v[0:1], v[8:9], v[0:1] neg_lo:[0,1] neg_hi:[0,1]
	v_pk_fma_f32 v[2:3], v[2:3], 0.5, v[78:79] op_sel_hi:[1,0,1] neg_lo:[1,0,0] neg_hi:[1,0,0]
	v_pk_mul_f32 v[0:1], v[0:1], s[0:1] op_sel_hi:[1,0]
	v_mov_b32_e32 v44, v27
	v_pk_add_f32 v[4:5], v[2:3], v[0:1] op_sel:[0,1] op_sel_hi:[1,0]
	v_pk_add_f32 v[0:1], v[2:3], v[0:1] op_sel:[0,1] op_sel_hi:[1,0] neg_lo:[0,1] neg_hi:[0,1]
	v_mov_b32_e32 v2, v4
	v_mov_b32_e32 v3, v1
	;; [unrolled: 1-line block ×3, first 2 shown]
	v_pk_mul_f32 v[4:5], v[74:75], v[32:33] op_sel:[0,1]
	v_accvgpr_write_b32 a73, v23
	v_pk_fma_f32 v[6:7], v[74:75], v[32:33], v[4:5] op_sel:[0,0,1] op_sel_hi:[1,1,0] neg_lo:[0,0,1] neg_hi:[0,0,1]
	v_pk_fma_f32 v[4:5], v[74:75], v[32:33], v[4:5] op_sel:[0,0,1] op_sel_hi:[1,0,0]
	v_accvgpr_write_b32 a124, v37
	v_mov_b32_e32 v7, v5
	v_pk_mul_f32 v[4:5], v[68:69], v[40:41] op_sel_hi:[1,0]
	v_accvgpr_write_b32 a122, v33
	v_pk_fma_f32 v[8:9], v[68:69], v[34:35], v[4:5] op_sel:[0,0,1] op_sel_hi:[1,1,0] neg_lo:[0,0,1] neg_hi:[0,0,1]
	v_pk_fma_f32 v[4:5], v[68:69], v[34:35], v[4:5] op_sel:[0,0,1] op_sel_hi:[1,0,0]
	v_accvgpr_write_b32 a120, v29
	v_mov_b32_e32 v9, v5
	v_pk_add_f32 v[4:5], v[64:65], v[6:7]
	v_pk_add_f32 v[10:11], v[6:7], v[8:9]
	v_pk_add_f32 v[6:7], v[6:7], v[8:9] neg_lo:[0,1] neg_hi:[0,1]
	v_pk_fma_f32 v[10:11], v[10:11], 0.5, v[64:65] op_sel_hi:[1,0,1] neg_lo:[1,0,0] neg_hi:[1,0,0]
	v_pk_mul_f32 v[6:7], v[6:7], s[0:1] op_sel_hi:[1,0]
	v_pk_add_f32 v[4:5], v[4:5], v[8:9]
	v_pk_add_f32 v[8:9], v[10:11], v[6:7] op_sel:[0,1] op_sel_hi:[1,0]
	v_pk_add_f32 v[6:7], v[10:11], v[6:7] op_sel:[0,1] op_sel_hi:[1,0] neg_lo:[0,1] neg_hi:[0,1]
	v_mov_b32_e32 v10, v8
	v_mov_b32_e32 v11, v7
	v_mov_b32_e32 v7, v9
	ds_write2_b64 v18, v[0:1], v[6:7] offset0:117 offset1:168
	v_pk_mul_f32 v[0:1], v[60:61], v[28:29] op_sel:[0,1]
	ds_write2_b64 v85, v[2:3], v[10:11] offset0:84 offset1:135
	v_pk_fma_f32 v[2:3], v[60:61], v[28:29], v[0:1] op_sel:[0,0,1] op_sel_hi:[1,1,0] neg_lo:[0,0,1] neg_hi:[0,0,1]
	v_pk_fma_f32 v[0:1], v[60:61], v[28:29], v[0:1] op_sel:[0,0,1] op_sel_hi:[1,0,0]
	v_accvgpr_write_b32 a118, v25
	v_mov_b32_e32 v3, v1
	v_pk_mul_f32 v[0:1], v[70:71], v[42:43] op_sel_hi:[1,0]
	v_accvgpr_write_b32 a110, v39
	v_pk_fma_f32 v[6:7], v[70:71], v[30:31], v[0:1] op_sel:[0,0,1] op_sel_hi:[1,1,0] neg_lo:[0,0,1] neg_hi:[0,0,1]
	v_pk_fma_f32 v[0:1], v[70:71], v[30:31], v[0:1] op_sel:[0,0,1] op_sel_hi:[1,0,0]
	v_accvgpr_write_b32 a72, v22
	v_mov_b32_e32 v7, v1
	v_pk_add_f32 v[0:1], v[66:67], v[2:3]
	v_accvgpr_write_b32 a71, v21
	v_pk_add_f32 v[0:1], v[0:1], v[6:7]
	ds_write2_b64 v84, v[4:5], v[0:1] offset0:102 offset1:153
	v_pk_add_f32 v[0:1], v[2:3], v[6:7]
	v_pk_add_f32 v[2:3], v[2:3], v[6:7] neg_lo:[0,1] neg_hi:[0,1]
	v_pk_fma_f32 v[0:1], v[0:1], 0.5, v[66:67] op_sel_hi:[1,0,1] neg_lo:[1,0,0] neg_hi:[1,0,0]
	v_pk_mul_f32 v[2:3], v[2:3], s[0:1] op_sel_hi:[1,0]
	v_accvgpr_write_b32 a70, v20
	v_pk_add_f32 v[4:5], v[0:1], v[2:3] op_sel:[0,1] op_sel_hi:[1,0]
	v_pk_add_f32 v[0:1], v[0:1], v[2:3] op_sel:[0,1] op_sel_hi:[1,0] neg_lo:[0,1] neg_hi:[0,1]
	v_mov_b32_e32 v2, v4
	v_mov_b32_e32 v3, v1
	;; [unrolled: 1-line block ×3, first 2 shown]
	ds_write_b64 v84, v[0:1] offset:5848
	v_pk_mul_f32 v[0:1], v[62:63], v[24:25] op_sel:[0,1]
	v_accvgpr_write_b32 a94, v36
	v_pk_fma_f32 v[4:5], v[62:63], v[24:25], v[0:1] op_sel:[0,0,1] op_sel_hi:[1,1,0] neg_lo:[0,0,1] neg_hi:[0,0,1]
	v_pk_fma_f32 v[0:1], v[62:63], v[24:25], v[0:1] op_sel:[0,0,1] op_sel_hi:[1,0,0]
	v_accvgpr_write_b32 a96, v38
	v_mov_b32_e32 v5, v1
	v_pk_mul_f32 v[0:1], v[88:89], v[44:45] op_sel_hi:[1,0]
	v_accvgpr_write_b32 a112, v35
	v_pk_fma_f32 v[6:7], v[88:89], v[26:27], v[0:1] op_sel:[0,0,1] op_sel_hi:[1,1,0] neg_lo:[0,0,1] neg_hi:[0,0,1]
	v_pk_fma_f32 v[0:1], v[88:89], v[26:27], v[0:1] op_sel:[0,0,1] op_sel_hi:[1,0,0]
	v_accvgpr_write_b32 a90, v32
	v_mov_b32_e32 v7, v1
	v_pk_add_f32 v[0:1], v[56:57], v[4:5]
	v_accvgpr_write_b32 a92, v34
	v_pk_add_f32 v[0:1], v[0:1], v[6:7]
	ds_write_b64 v84, v[0:1] offset:1632
	v_pk_add_f32 v[0:1], v[4:5], v[6:7]
	v_pk_add_f32 v[4:5], v[4:5], v[6:7] neg_lo:[0,1] neg_hi:[0,1]
	v_pk_fma_f32 v[0:1], v[0:1], 0.5, v[56:57] op_sel_hi:[1,0,1] neg_lo:[1,0,0] neg_hi:[1,0,0]
	v_pk_mul_f32 v[4:5], v[4:5], s[0:1] op_sel_hi:[1,0]
	v_accvgpr_write_b32 a114, v31
	v_pk_add_f32 v[6:7], v[0:1], v[4:5] op_sel:[0,1] op_sel_hi:[1,0]
	v_pk_add_f32 v[0:1], v[0:1], v[4:5] op_sel:[0,1] op_sel_hi:[1,0] neg_lo:[0,1] neg_hi:[0,1]
	v_accvgpr_write_b32 a86, v28
	v_accvgpr_write_b32 a88, v30
	;; [unrolled: 1-line block ×5, first 2 shown]
	v_mov_b32_e32 v4, v6
	v_mov_b32_e32 v5, v1
	;; [unrolled: 1-line block ×3, first 2 shown]
	ds_write2_b64 v85, v[2:3], v[4:5] offset0:186 offset1:237
	ds_write_b64 v84, v[0:1] offset:6256
	s_and_saveexec_b64 s[0:1], vcc
	s_cbranch_execz .LBB0_5
; %bb.4:
	v_pk_add_f32 v[0:1], v[86:87], v[58:59]
	v_mov_b32_e32 v77, v81
	v_pk_add_f32 v[0:1], v[0:1], v[72:73]
	ds_write_b64 v84, v[0:1] offset:2040
	ds_write_b64 v84, v[76:77] offset:4352
	;; [unrolled: 1-line block ×3, first 2 shown]
.LBB0_5:
	s_or_b64 exec, exec, s[0:1]
	v_lshlrev_b32_e32 v0, 3, v16
	v_mov_b32_e32 v1, 0
	v_lshl_add_u64 v[0:1], s[8:9], 0, v[0:1]
	s_movk_i32 s0, 0x1000
	v_add_co_u32_e64 v2, s[0:1], s0, v0
	s_waitcnt lgkmcnt(0)
	s_nop 0
	v_addc_co_u32_e64 v3, s[0:1], 0, v1, s[0:1]
	; wave barrier
	global_load_dwordx2 v[2:3], v[2:3], off offset:2840
	s_mov_b64 s[8:9], 0x1b18
	v_lshl_add_u64 v[4:5], v[0:1], 0, s[8:9]
	global_load_dwordx2 v[6:7], v[4:5], off offset:408
	global_load_dwordx2 v[8:9], v[4:5], off offset:816
	;; [unrolled: 1-line block ×8, first 2 shown]
	s_movk_i32 s0, 0x2000
	v_add_co_u32_e64 v22, s[0:1], s0, v0
	v_add_u32_e32 v30, 0x800, v84
	s_nop 0
	v_addc_co_u32_e64 v23, s[0:1], 0, v1, s[0:1]
	global_load_dwordx2 v[68:69], v[4:5], off offset:3672
	global_load_dwordx2 v[80:81], v[22:23], off offset:3232
	s_nop 0
	global_load_dwordx2 v[4:5], v[4:5], off offset:4080
	s_nop 0
	;; [unrolled: 2-line block ×3, first 2 shown]
	global_load_dwordx2 v[22:23], v[22:23], off offset:4048
	s_movk_i32 s0, 0x3000
	v_add_co_u32_e64 v0, s[0:1], s0, v0
	ds_read2_b64 v[56:59], v84 offset1:51
	s_nop 0
	v_addc_co_u32_e64 v1, s[0:1], 0, v1, s[0:1]
	global_load_dwordx2 v[86:87], v[0:1], off offset:360
	global_load_dwordx2 v[88:89], v[0:1], off offset:768
	v_add_u32_e32 v31, 0xc00, v84
	global_load_dwordx2 v[0:1], v[0:1], off offset:1176
	v_add_u32_e32 v85, 0x1000, v84
	s_mov_b32 s34, 0xbeb8f4ab
	s_mov_b32 s0, 0x3f6eb680
	;; [unrolled: 1-line block ×24, first 2 shown]
	v_accvgpr_write_b32 a49, v30
	v_accvgpr_write_b32 a79, v31
	s_mov_b32 s56, s14
	s_mov_b32 s57, s46
	;; [unrolled: 1-line block ×14, first 2 shown]
	s_waitcnt vmcnt(15) lgkmcnt(0)
	v_mul_f32_e32 v25, v59, v7
	v_mul_f32_e32 v24, v57, v3
	;; [unrolled: 1-line block ×4, first 2 shown]
	v_fma_f32 v60, v56, v2, -v24
	v_fmac_f32_e32 v61, v57, v2
	v_fma_f32 v2, v58, v6, -v25
	v_fmac_f32_e32 v3, v59, v6
	ds_write2_b64 v84, v[60:61], v[2:3] offset1:51
	ds_read2_b64 v[56:59], v84 offset0:102 offset1:153
	ds_read2_b64 v[60:63], v84 offset0:204 offset1:255
	;; [unrolled: 1-line block ×5, first 2 shown]
	s_waitcnt vmcnt(14) lgkmcnt(4)
	v_mul_f32_e32 v2, v57, v9
	v_mul_f32_e32 v3, v56, v9
	s_waitcnt vmcnt(13)
	v_mul_f32_e32 v6, v59, v11
	v_mul_f32_e32 v7, v58, v11
	s_waitcnt vmcnt(12) lgkmcnt(3)
	v_mul_f32_e32 v24, v61, v13
	v_mul_f32_e32 v9, v60, v13
	s_waitcnt vmcnt(11)
	v_mul_f32_e32 v25, v63, v15
	v_mul_f32_e32 v11, v62, v15
	;; [unrolled: 6-line block ×4, first 2 shown]
	v_fma_f32 v2, v56, v8, -v2
	v_fmac_f32_e32 v3, v57, v8
	v_fma_f32 v6, v58, v10, -v6
	v_fmac_f32_e32 v7, v59, v10
	v_fma_f32 v8, v60, v12, -v24
	v_fmac_f32_e32 v9, v61, v12
	v_fma_f32 v10, v62, v14, -v25
	v_fmac_f32_e32 v11, v63, v14
	v_fma_f32 v12, v64, v16, -v26
	v_fmac_f32_e32 v13, v65, v16
	v_fma_f32 v14, v66, v18, -v27
	v_fmac_f32_e32 v15, v67, v18
	v_fma_f32 v16, v72, v20, -v28
	v_fmac_f32_e32 v17, v73, v20
	v_fma_f32 v18, v74, v68, -v21
	v_fmac_f32_e32 v19, v75, v68
	ds_write2_b64 v84, v[2:3], v[6:7] offset0:102 offset1:153
	ds_write2_b64 v84, v[8:9], v[10:11] offset0:204 offset1:255
	;; [unrolled: 1-line block ×4, first 2 shown]
	ds_read2_b64 v[56:59], v85 offset0:100 offset1:151
	s_waitcnt vmcnt(5) lgkmcnt(5)
	v_mul_f32_e32 v29, v77, v5
	v_mul_f32_e32 v3, v76, v5
	v_fma_f32 v2, v76, v4, -v29
	v_fmac_f32_e32 v3, v77, v4
	v_mul_f32_e32 v4, v79, v81
	v_mul_f32_e32 v5, v78, v81
	v_fma_f32 v4, v78, v80, -v4
	v_fmac_f32_e32 v5, v79, v80
	ds_write2_b64 v31, v[2:3], v[4:5] offset0:126 offset1:177
	s_waitcnt vmcnt(4) lgkmcnt(1)
	v_mul_f32_e32 v2, v57, v83
	v_mul_f32_e32 v3, v56, v83
	s_waitcnt vmcnt(3)
	v_mul_f32_e32 v4, v59, v23
	ds_read2_b64 v[60:63], v85 offset0:202 offset1:253
	v_mul_f32_e32 v5, v58, v23
	v_fma_f32 v2, v56, v82, -v2
	v_fmac_f32_e32 v3, v57, v82
	v_fma_f32 v4, v58, v22, -v4
	v_fmac_f32_e32 v5, v59, v22
	ds_write2_b64 v85, v[2:3], v[4:5] offset0:100 offset1:151
	ds_read_b64 v[4:5], v84 offset:6528
	s_waitcnt vmcnt(2) lgkmcnt(2)
	v_mul_f32_e32 v2, v61, v87
	v_mul_f32_e32 v3, v60, v87
	s_waitcnt vmcnt(1)
	v_mul_f32_e32 v6, v63, v89
	v_mul_f32_e32 v7, v62, v89
	v_fma_f32 v2, v60, v86, -v2
	v_fmac_f32_e32 v3, v61, v86
	v_fma_f32 v6, v62, v88, -v6
	v_fmac_f32_e32 v7, v63, v88
	ds_write2_b64 v85, v[2:3], v[6:7] offset0:202 offset1:253
	s_waitcnt vmcnt(0) lgkmcnt(1)
	v_mul_f32_e32 v2, v5, v1
	v_mul_f32_e32 v3, v4, v1
	v_fma_f32 v2, v4, v0, -v2
	v_fmac_f32_e32 v3, v5, v0
	ds_write_b64 v84, v[2:3] offset:6528
	s_waitcnt lgkmcnt(0)
	; wave barrier
	s_waitcnt lgkmcnt(0)
	ds_read2_b64 v[56:59], v84 offset1:51
	ds_read2_b64 v[88:91], v30 offset0:50 offset1:101
	ds_read2_b64 v[94:97], v30 offset0:152 offset1:203
	;; [unrolled: 1-line block ×7, first 2 shown]
	ds_read_b64 v[0:1], v84 offset:6528
	s_waitcnt lgkmcnt(8)
	v_pk_add_f32 v[2:3], v[56:57], v[58:59]
	s_waitcnt lgkmcnt(0)
	v_pk_add_f32 v[2:3], v[2:3], v[64:65]
	v_pk_add_f32 v[240:241], v[64:65], v[78:79] neg_lo:[0,1] neg_hi:[0,1]
	v_pk_add_f32 v[2:3], v[2:3], v[66:67]
	v_pk_add_f32 v[236:237], v[58:59], v[0:1] neg_lo:[0,1] neg_hi:[0,1]
	v_pk_add_f32 v[2:3], v[2:3], v[80:81]
	v_pk_add_f32 v[234:235], v[0:1], v[58:59]
	;; [unrolled: 1-line block ×5, first 2 shown]
	v_pk_add_f32 v[244:245], v[66:67], v[76:77] neg_lo:[0,1] neg_hi:[0,1]
	v_pk_add_f32 v[2:3], v[2:3], v[90:91]
	v_pk_add_f32 v[242:243], v[76:77], v[66:67]
	v_pk_add_f32 v[2:3], v[2:3], v[94:95]
	v_pk_add_f32 v[248:249], v[80:81], v[74:75] neg_lo:[0,1] neg_hi:[0,1]
	v_pk_add_f32 v[2:3], v[2:3], v[96:97]
	v_pk_add_f32 v[246:247], v[74:75], v[80:81]
	v_pk_add_f32 v[2:3], v[2:3], v[98:99]
	v_pk_add_f32 v[252:253], v[82:83], v[72:73] neg_lo:[0,1] neg_hi:[0,1]
	v_pk_add_f32 v[2:3], v[2:3], v[100:101]
	v_pk_add_f32 v[250:251], v[72:73], v[82:83]
	v_pk_add_f32 v[2:3], v[2:3], v[72:73]
	v_pk_add_f32 v[86:87], v[88:89], v[100:101] neg_lo:[0,1] neg_hi:[0,1]
	v_pk_add_f32 v[2:3], v[2:3], v[74:75]
	v_pk_add_f32 v[254:255], v[100:101], v[88:89]
	v_pk_add_f32 v[2:3], v[2:3], v[76:77]
	v_pk_add_f32 v[88:89], v[98:99], v[90:91]
	v_pk_add_f32 v[2:3], v[2:3], v[78:79]
	v_pk_add_f32 v[90:91], v[90:91], v[98:99] neg_lo:[0,1] neg_hi:[0,1]
	v_pk_add_f32 v[2:3], v[2:3], v[0:1]
	v_pk_mul_f32 v[0:1], v[236:237], s[34:35] op_sel_hi:[1,0]
	v_pk_add_f32 v[92:93], v[96:97], v[94:95]
	v_pk_fma_f32 v[4:5], v[234:235], s[0:1], v[0:1] op_sel:[0,0,1] op_sel_hi:[1,0,0]
	v_pk_fma_f32 v[60:61], v[234:235], s[0:1], v[0:1] op_sel:[0,0,1] op_sel_hi:[1,0,0] neg_lo:[0,0,1] neg_hi:[0,0,1]
	v_mov_b32_e32 v0, v4
	v_accvgpr_write_b32 a81, v5
	v_pk_mul_f32 v[4:5], v[240:241], s[42:43] op_sel_hi:[1,0]
	v_mov_b32_e32 v1, v61
	v_pk_fma_f32 v[6:7], v[238:239], s[16:17], v[4:5] op_sel:[0,0,1] op_sel_hi:[1,0,0]
	v_pk_fma_f32 v[64:65], v[238:239], s[16:17], v[4:5] op_sel:[0,0,1] op_sel_hi:[1,0,0] neg_lo:[0,0,1] neg_hi:[0,0,1]
	v_pk_add_f32 v[0:1], v[56:57], v[0:1]
	v_mov_b32_e32 v4, v6
	v_mov_b32_e32 v5, v65
	v_pk_add_f32 v[0:1], v[4:5], v[0:1]
	v_pk_mul_f32 v[4:5], v[244:245], s[46:47] op_sel_hi:[1,0]
	v_accvgpr_write_b32 a87, v7
	v_pk_fma_f32 v[6:7], v[242:243], s[14:15], v[4:5] op_sel:[0,0,1] op_sel_hi:[1,0,0]
	v_pk_fma_f32 v[68:69], v[242:243], s[14:15], v[4:5] op_sel:[0,0,1] op_sel_hi:[1,0,0] neg_lo:[0,0,1] neg_hi:[0,0,1]
	v_mov_b32_e32 v4, v6
	v_mov_b32_e32 v5, v69
	v_pk_add_f32 v[0:1], v[4:5], v[0:1]
	v_pk_mul_f32 v[4:5], v[248:249], s[36:37] op_sel_hi:[1,0]
	v_accvgpr_write_b32 a89, v7
	v_pk_fma_f32 v[6:7], v[246:247], s[8:9], v[4:5] op_sel:[0,0,1] op_sel_hi:[1,0,0]
	v_pk_fma_f32 v[74:75], v[246:247], s[8:9], v[4:5] op_sel:[0,0,1] op_sel_hi:[1,0,0] neg_lo:[0,0,1] neg_hi:[0,0,1]
	;; [unrolled: 7-line block ×3, first 2 shown]
	v_mov_b32_e32 v4, v6
	v_mov_b32_e32 v5, v79
	v_pk_add_f32 v[0:1], v[4:5], v[0:1]
	v_pk_mul_f32 v[4:5], v[86:87], s[24:25] op_sel_hi:[1,0]
	v_pk_add_f32 v[94:95], v[94:95], v[96:97] neg_lo:[0,1] neg_hi:[0,1]
	v_pk_fma_f32 v[80:81], v[254:255], s[12:13], v[4:5] op_sel:[0,0,1] op_sel_hi:[1,0,0]
	v_pk_fma_f32 v[82:83], v[254:255], s[12:13], v[4:5] op_sel:[0,0,1] op_sel_hi:[1,0,0] neg_lo:[0,0,1] neg_hi:[0,0,1]
	v_mov_b32_e32 v4, v80
	v_mov_b32_e32 v5, v83
	v_pk_add_f32 v[0:1], v[4:5], v[0:1]
	v_pk_mul_f32 v[4:5], v[90:91], s[26:27] op_sel_hi:[1,0]
	; wave barrier
	s_nop 0
	v_pk_fma_f32 v[76:77], v[88:89], s[20:21], v[4:5] op_sel:[0,0,1] op_sel_hi:[1,0,0]
	v_pk_fma_f32 v[164:165], v[88:89], s[20:21], v[4:5] op_sel:[0,0,1] op_sel_hi:[1,0,0] neg_lo:[0,0,1] neg_hi:[0,0,1]
	v_mov_b32_e32 v4, v76
	v_mov_b32_e32 v5, v165
	v_pk_add_f32 v[0:1], v[4:5], v[0:1]
	v_pk_mul_f32 v[4:5], v[94:95], s[28:29] op_sel_hi:[1,0]
	v_accvgpr_write_b32 a93, v7
	v_pk_fma_f32 v[66:67], v[92:93], s[18:19], v[4:5] op_sel:[0,0,1] op_sel_hi:[1,0,0]
	v_pk_fma_f32 v[168:169], v[92:93], s[18:19], v[4:5] op_sel:[0,0,1] op_sel_hi:[1,0,0] neg_lo:[0,0,1] neg_hi:[0,0,1]
	v_mov_b32_e32 v4, v66
	v_mov_b32_e32 v5, v169
	v_pk_add_f32 v[0:1], v[4:5], v[0:1]
	v_accvgpr_read_b32 v66, a48
	ds_write2_b64 v66, v[2:3], v[0:1] offset1:1
	v_pk_mul_f32 v[0:1], v[236:237], s[42:43] op_sel_hi:[1,0]
	v_pk_mul_f32 v[2:3], v[240:241], s[36:37] op_sel_hi:[1,0]
	v_pk_fma_f32 v[170:171], v[234:235], s[16:17], v[0:1] op_sel:[0,0,1] op_sel_hi:[1,0,0]
	v_pk_fma_f32 v[172:173], v[234:235], s[16:17], v[0:1] op_sel:[0,0,1] op_sel_hi:[1,0,0] neg_lo:[0,0,1] neg_hi:[0,0,1]
	v_mov_b32_e32 v0, v170
	v_mov_b32_e32 v1, v173
	v_pk_fma_f32 v[174:175], v[238:239], s[8:9], v[2:3] op_sel:[0,0,1] op_sel_hi:[1,0,0]
	v_pk_fma_f32 v[176:177], v[238:239], s[8:9], v[2:3] op_sel:[0,0,1] op_sel_hi:[1,0,0] neg_lo:[0,0,1] neg_hi:[0,0,1]
	v_pk_add_f32 v[0:1], v[56:57], v[0:1]
	v_mov_b32_e32 v2, v174
	v_mov_b32_e32 v3, v177
	v_pk_add_f32 v[0:1], v[2:3], v[0:1]
	v_pk_mul_f32 v[2:3], v[244:245], s[24:25] op_sel_hi:[1,0]
	v_pk_mul_f32 v[4:5], v[240:241], s[24:25] op_sel_hi:[1,0]
	v_pk_fma_f32 v[178:179], v[242:243], s[12:13], v[2:3] op_sel:[0,0,1] op_sel_hi:[1,0,0]
	v_pk_fma_f32 v[180:181], v[242:243], s[12:13], v[2:3] op_sel:[0,0,1] op_sel_hi:[1,0,0] neg_lo:[0,0,1] neg_hi:[0,0,1]
	v_mov_b32_e32 v2, v178
	v_mov_b32_e32 v3, v181
	v_pk_add_f32 v[0:1], v[2:3], v[0:1]
	v_pk_mul_f32 v[2:3], v[248:249], s[28:29] op_sel_hi:[1,0]
	v_pk_fma_f32 v[206:207], v[238:239], s[12:13], v[4:5] op_sel:[0,0,1] op_sel_hi:[1,0,0]
	v_pk_fma_f32 v[182:183], v[246:247], s[18:19], v[2:3] op_sel:[0,0,1] op_sel_hi:[1,0,0]
	v_pk_fma_f32 v[184:185], v[246:247], s[18:19], v[2:3] op_sel:[0,0,1] op_sel_hi:[1,0,0] neg_lo:[0,0,1] neg_hi:[0,0,1]
	v_mov_b32_e32 v2, v182
	v_mov_b32_e32 v3, v185
	v_pk_add_f32 v[0:1], v[2:3], v[0:1]
	v_pk_mul_f32 v[2:3], v[252:253], s[52:53] op_sel_hi:[1,0]
	v_pk_fma_f32 v[208:209], v[238:239], s[12:13], v[4:5] op_sel:[0,0,1] op_sel_hi:[1,0,0] neg_lo:[0,0,1] neg_hi:[0,0,1]
	v_pk_fma_f32 v[186:187], v[250:251], s[20:21], v[2:3] op_sel:[0,0,1] op_sel_hi:[1,0,0]
	v_pk_fma_f32 v[188:189], v[250:251], s[20:21], v[2:3] op_sel:[0,0,1] op_sel_hi:[1,0,0] neg_lo:[0,0,1] neg_hi:[0,0,1]
	v_mov_b32_e32 v2, v186
	v_mov_b32_e32 v3, v189
	v_pk_add_f32 v[0:1], v[2:3], v[0:1]
	v_pk_mul_f32 v[2:3], v[86:87], s[48:49] op_sel_hi:[1,0]
	v_mov_b32_e32 v4, v206
	v_pk_fma_f32 v[190:191], v[254:255], s[10:11], v[2:3] op_sel:[0,0,1] op_sel_hi:[1,0,0]
	v_pk_fma_f32 v[192:193], v[254:255], s[10:11], v[2:3] op_sel:[0,0,1] op_sel_hi:[1,0,0] neg_lo:[0,0,1] neg_hi:[0,0,1]
	v_mov_b32_e32 v2, v190
	v_mov_b32_e32 v3, v193
	v_pk_add_f32 v[0:1], v[2:3], v[0:1]
	v_pk_mul_f32 v[2:3], v[90:91], s[30:31] op_sel_hi:[1,0]
	v_mov_b32_e32 v5, v209
	v_pk_fma_f32 v[194:195], v[88:89], s[14:15], v[2:3] op_sel:[0,0,1] op_sel_hi:[1,0,0]
	v_pk_fma_f32 v[196:197], v[88:89], s[14:15], v[2:3] op_sel:[0,0,1] op_sel_hi:[1,0,0] neg_lo:[0,0,1] neg_hi:[0,0,1]
	v_mov_b32_e32 v2, v194
	v_mov_b32_e32 v3, v197
	v_pk_add_f32 v[0:1], v[2:3], v[0:1]
	v_pk_mul_f32 v[2:3], v[94:95], s[40:41] op_sel_hi:[1,0]
	v_pk_mul_f32 v[6:7], v[240:241], s[48:49] op_sel_hi:[1,0]
	v_pk_fma_f32 v[198:199], v[92:93], s[0:1], v[2:3] op_sel:[0,0,1] op_sel_hi:[1,0,0]
	v_pk_fma_f32 v[200:201], v[92:93], s[0:1], v[2:3] op_sel:[0,0,1] op_sel_hi:[1,0,0] neg_lo:[0,0,1] neg_hi:[0,0,1]
	v_mov_b32_e32 v2, v198
	v_mov_b32_e32 v3, v201
	v_pk_add_f32 v[0:1], v[2:3], v[0:1]
	v_pk_mul_f32 v[2:3], v[236:237], s[46:47] op_sel_hi:[1,0]
	v_pk_fma_f32 v[58:59], v[238:239], s[10:11], v[6:7] op_sel:[0,0,1] op_sel_hi:[1,0,0]
	v_pk_fma_f32 v[202:203], v[234:235], s[14:15], v[2:3] op_sel:[0,0,1] op_sel_hi:[1,0,0]
	v_pk_fma_f32 v[204:205], v[234:235], s[14:15], v[2:3] op_sel:[0,0,1] op_sel_hi:[1,0,0] neg_lo:[0,0,1] neg_hi:[0,0,1]
	v_mov_b32_e32 v2, v202
	v_mov_b32_e32 v3, v205
	v_pk_add_f32 v[2:3], v[56:57], v[2:3]
	v_pk_fma_f32 v[6:7], v[238:239], s[10:11], v[6:7] op_sel:[0,0,1] op_sel_hi:[1,0,0] neg_lo:[0,0,1] neg_hi:[0,0,1]
	v_pk_add_f32 v[2:3], v[4:5], v[2:3]
	v_pk_mul_f32 v[4:5], v[244:245], s[54:55] op_sel_hi:[1,0]
	v_mov_b32_e32 v10, v58
	v_pk_fma_f32 v[210:211], v[242:243], s[18:19], v[4:5] op_sel:[0,0,1] op_sel_hi:[1,0,0]
	v_pk_fma_f32 v[212:213], v[242:243], s[18:19], v[4:5] op_sel:[0,0,1] op_sel_hi:[1,0,0] neg_lo:[0,0,1] neg_hi:[0,0,1]
	v_mov_b32_e32 v4, v210
	v_mov_b32_e32 v5, v213
	v_pk_add_f32 v[2:3], v[4:5], v[2:3]
	v_pk_mul_f32 v[4:5], v[248:249], s[48:49] op_sel_hi:[1,0]
	v_mov_b32_e32 v11, v7
	v_pk_fma_f32 v[214:215], v[246:247], s[10:11], v[4:5] op_sel:[0,0,1] op_sel_hi:[1,0,0]
	v_pk_fma_f32 v[216:217], v[246:247], s[10:11], v[4:5] op_sel:[0,0,1] op_sel_hi:[1,0,0] neg_lo:[0,0,1] neg_hi:[0,0,1]
	v_mov_b32_e32 v4, v214
	v_mov_b32_e32 v5, v217
	v_pk_add_f32 v[2:3], v[4:5], v[2:3]
	v_pk_mul_f32 v[4:5], v[252:253], s[38:39] op_sel_hi:[1,0]
	v_pk_mul_f32 v[34:35], v[236:237], s[26:27] op_sel_hi:[1,0]
	v_pk_fma_f32 v[218:219], v[250:251], s[16:17], v[4:5] op_sel:[0,0,1] op_sel_hi:[1,0,0]
	v_pk_fma_f32 v[220:221], v[250:251], s[16:17], v[4:5] op_sel:[0,0,1] op_sel_hi:[1,0,0] neg_lo:[0,0,1] neg_hi:[0,0,1]
	v_mov_b32_e32 v4, v218
	v_mov_b32_e32 v5, v221
	v_pk_add_f32 v[2:3], v[4:5], v[2:3]
	v_pk_mul_f32 v[4:5], v[86:87], s[34:35] op_sel_hi:[1,0]
	v_pk_fma_f32 v[24:25], v[234:235], s[20:21], v[34:35] op_sel:[0,0,1] op_sel_hi:[1,0,0]
	v_pk_fma_f32 v[222:223], v[254:255], s[0:1], v[4:5] op_sel:[0,0,1] op_sel_hi:[1,0,0]
	v_pk_fma_f32 v[224:225], v[254:255], s[0:1], v[4:5] op_sel:[0,0,1] op_sel_hi:[1,0,0] neg_lo:[0,0,1] neg_hi:[0,0,1]
	v_mov_b32_e32 v4, v222
	v_mov_b32_e32 v5, v225
	v_pk_add_f32 v[2:3], v[4:5], v[2:3]
	v_pk_mul_f32 v[4:5], v[90:91], s[36:37] op_sel_hi:[1,0]
	v_pk_fma_f32 v[34:35], v[234:235], s[20:21], v[34:35] op_sel:[0,0,1] op_sel_hi:[1,0,0] neg_lo:[0,0,1] neg_hi:[0,0,1]
	v_pk_fma_f32 v[226:227], v[88:89], s[8:9], v[4:5] op_sel:[0,0,1] op_sel_hi:[1,0,0]
	v_pk_fma_f32 v[228:229], v[88:89], s[8:9], v[4:5] op_sel:[0,0,1] op_sel_hi:[1,0,0] neg_lo:[0,0,1] neg_hi:[0,0,1]
	v_mov_b32_e32 v4, v226
	v_mov_b32_e32 v5, v229
	v_pk_add_f32 v[2:3], v[4:5], v[2:3]
	v_pk_mul_f32 v[4:5], v[94:95], s[26:27] op_sel_hi:[1,0]
	v_mov_b32_e32 v7, v59
	v_pk_fma_f32 v[230:231], v[92:93], s[20:21], v[4:5] op_sel:[0,0,1] op_sel_hi:[1,0,0]
	v_pk_fma_f32 v[232:233], v[92:93], s[20:21], v[4:5] op_sel:[0,0,1] op_sel_hi:[1,0,0] neg_lo:[0,0,1] neg_hi:[0,0,1]
	v_mov_b32_e32 v4, v230
	v_mov_b32_e32 v5, v233
	v_pk_add_f32 v[2:3], v[4:5], v[2:3]
	ds_write2_b64 v66, v[0:1], v[2:3] offset0:2 offset1:3
	v_pk_mul_f32 v[0:1], v[236:237], s[36:37] op_sel_hi:[1,0]
	v_pk_mul_f32 v[2:3], v[240:241], s[28:29] op_sel_hi:[1,0]
	v_pk_fma_f32 v[98:99], v[234:235], s[8:9], v[0:1] op_sel:[0,0,1] op_sel_hi:[1,0,0]
	v_pk_fma_f32 v[96:97], v[234:235], s[8:9], v[0:1] op_sel:[0,0,1] op_sel_hi:[1,0,0] neg_lo:[0,0,1] neg_hi:[0,0,1]
	v_mov_b32_e32 v0, v98
	v_mov_b32_e32 v1, v97
	v_pk_fma_f32 v[104:105], v[238:239], s[18:19], v[2:3] op_sel:[0,0,1] op_sel_hi:[1,0,0]
	v_pk_fma_f32 v[102:103], v[238:239], s[18:19], v[2:3] op_sel:[0,0,1] op_sel_hi:[1,0,0] neg_lo:[0,0,1] neg_hi:[0,0,1]
	v_pk_add_f32 v[0:1], v[56:57], v[0:1]
	v_mov_b32_e32 v2, v104
	v_mov_b32_e32 v3, v103
	v_pk_add_f32 v[0:1], v[2:3], v[0:1]
	v_pk_mul_f32 v[2:3], v[244:245], s[48:49] op_sel_hi:[1,0]
	v_pk_mul_f32 v[4:5], v[240:241], s[52:53] op_sel_hi:[1,0]
	v_pk_fma_f32 v[110:111], v[242:243], s[10:11], v[2:3] op_sel:[0,0,1] op_sel_hi:[1,0,0]
	v_pk_fma_f32 v[108:109], v[242:243], s[10:11], v[2:3] op_sel:[0,0,1] op_sel_hi:[1,0,0] neg_lo:[0,0,1] neg_hi:[0,0,1]
	v_mov_b32_e32 v2, v110
	v_mov_b32_e32 v3, v109
	v_pk_add_f32 v[0:1], v[2:3], v[0:1]
	v_pk_mul_f32 v[2:3], v[248:249], s[40:41] op_sel_hi:[1,0]
	v_pk_fma_f32 v[126:127], v[238:239], s[20:21], v[4:5] op_sel:[0,0,1] op_sel_hi:[1,0,0]
	v_pk_fma_f32 v[114:115], v[246:247], s[0:1], v[2:3] op_sel:[0,0,1] op_sel_hi:[1,0,0]
	v_pk_fma_f32 v[112:113], v[246:247], s[0:1], v[2:3] op_sel:[0,0,1] op_sel_hi:[1,0,0] neg_lo:[0,0,1] neg_hi:[0,0,1]
	v_mov_b32_e32 v2, v114
	v_mov_b32_e32 v3, v113
	v_pk_add_f32 v[0:1], v[2:3], v[0:1]
	v_pk_mul_f32 v[2:3], v[252:253], s[46:47] op_sel_hi:[1,0]
	v_pk_fma_f32 v[124:125], v[238:239], s[20:21], v[4:5] op_sel:[0,0,1] op_sel_hi:[1,0,0] neg_lo:[0,0,1] neg_hi:[0,0,1]
	v_pk_fma_f32 v[118:119], v[250:251], s[14:15], v[2:3] op_sel:[0,0,1] op_sel_hi:[1,0,0]
	v_pk_fma_f32 v[116:117], v[250:251], s[14:15], v[2:3] op_sel:[0,0,1] op_sel_hi:[1,0,0] neg_lo:[0,0,1] neg_hi:[0,0,1]
	v_mov_b32_e32 v2, v118
	v_mov_b32_e32 v3, v117
	v_pk_add_f32 v[0:1], v[2:3], v[0:1]
	v_pk_mul_f32 v[2:3], v[86:87], s[26:27] op_sel_hi:[1,0]
	v_mov_b32_e32 v4, v126
	v_pk_fma_f32 v[122:123], v[254:255], s[20:21], v[2:3] op_sel:[0,0,1] op_sel_hi:[1,0,0]
	v_pk_fma_f32 v[120:121], v[254:255], s[20:21], v[2:3] op_sel:[0,0,1] op_sel_hi:[1,0,0] neg_lo:[0,0,1] neg_hi:[0,0,1]
	v_mov_b32_e32 v2, v122
	v_mov_b32_e32 v3, v121
	v_pk_add_f32 v[0:1], v[2:3], v[0:1]
	v_pk_mul_f32 v[2:3], v[90:91], s[50:51] op_sel_hi:[1,0]
	v_mov_b32_e32 v5, v125
	;; [unrolled: 7-line block ×4, first 2 shown]
	v_pk_fma_f32 v[100:101], v[234:235], s[10:11], v[2:3] op_sel:[0,0,1] op_sel_hi:[1,0,0]
	v_pk_fma_f32 v[152:153], v[234:235], s[10:11], v[2:3] op_sel:[0,0,1] op_sel_hi:[1,0,0] neg_lo:[0,0,1] neg_hi:[0,0,1]
	v_mov_b32_e32 v2, v100
	v_mov_b32_e32 v3, v153
	v_pk_add_f32 v[2:3], v[56:57], v[2:3]
	v_mov_b32_e32 v153, v101
	v_pk_add_f32 v[2:3], v[4:5], v[2:3]
	v_pk_mul_f32 v[4:5], v[244:245], s[38:39] op_sel_hi:[1,0]
	v_mov_b32_e32 v103, v105
	v_pk_fma_f32 v[130:131], v[242:243], s[16:17], v[4:5] op_sel:[0,0,1] op_sel_hi:[1,0,0]
	v_pk_fma_f32 v[128:129], v[242:243], s[16:17], v[4:5] op_sel:[0,0,1] op_sel_hi:[1,0,0] neg_lo:[0,0,1] neg_hi:[0,0,1]
	v_mov_b32_e32 v4, v130
	v_mov_b32_e32 v5, v129
	v_pk_add_f32 v[2:3], v[4:5], v[2:3]
	v_pk_mul_f32 v[4:5], v[248:249], s[46:47] op_sel_hi:[1,0]
	v_mov_b32_e32 v129, v131
	v_pk_fma_f32 v[134:135], v[246:247], s[14:15], v[4:5] op_sel:[0,0,1] op_sel_hi:[1,0,0]
	v_pk_fma_f32 v[132:133], v[246:247], s[14:15], v[4:5] op_sel:[0,0,1] op_sel_hi:[1,0,0] neg_lo:[0,0,1] neg_hi:[0,0,1]
	v_mov_b32_e32 v4, v134
	;; [unrolled: 7-line block ×6, first 2 shown]
	v_mov_b32_e32 v5, v155
	v_pk_add_f32 v[2:3], v[4:5], v[2:3]
	ds_write2_b64 v66, v[0:1], v[2:3] offset0:4 offset1:5
	v_pk_mul_f32 v[0:1], v[236:237], s[24:25] op_sel_hi:[1,0]
	v_mov_b32_e32 v117, v119
	v_pk_fma_f32 v[62:63], v[234:235], s[12:13], v[0:1] op_sel:[0,0,1] op_sel_hi:[1,0,0]
	v_pk_fma_f32 v[0:1], v[234:235], s[12:13], v[0:1] op_sel:[0,0,1] op_sel_hi:[1,0,0] neg_lo:[0,0,1] neg_hi:[0,0,1]
	v_mov_b32_e32 v4, v62
	v_mov_b32_e32 v5, v1
	v_pk_add_f32 v[4:5], v[56:57], v[4:5]
	v_mov_b32_e32 v1, v63
	v_pk_add_f32 v[4:5], v[10:11], v[4:5]
	v_pk_mul_f32 v[10:11], v[244:245], s[34:35] op_sel_hi:[1,0]
	v_pk_add_f32 v[0:1], v[56:57], v[0:1]
	v_pk_fma_f32 v[12:13], v[242:243], s[0:1], v[10:11] op_sel:[0,0,1] op_sel_hi:[1,0,0]
	v_pk_fma_f32 v[10:11], v[242:243], s[0:1], v[10:11] op_sel:[0,0,1] op_sel_hi:[1,0,0] neg_lo:[0,0,1] neg_hi:[0,0,1]
	v_mov_b32_e32 v14, v12
	v_mov_b32_e32 v15, v11
	v_pk_add_f32 v[4:5], v[14:15], v[4:5]
	v_pk_mul_f32 v[14:15], v[248:249], s[26:27] op_sel_hi:[1,0]
	v_pk_add_f32 v[0:1], v[6:7], v[0:1]
	v_pk_fma_f32 v[16:17], v[246:247], s[20:21], v[14:15] op_sel:[0,0,1] op_sel_hi:[1,0,0]
	v_pk_fma_f32 v[14:15], v[246:247], s[20:21], v[14:15] op_sel:[0,0,1] op_sel_hi:[1,0,0] neg_lo:[0,0,1] neg_hi:[0,0,1]
	v_mov_b32_e32 v18, v16
	v_mov_b32_e32 v19, v15
	v_pk_add_f32 v[4:5], v[18:19], v[4:5]
	v_pk_mul_f32 v[18:19], v[252:253], s[44:45] op_sel_hi:[1,0]
	v_mov_b32_e32 v11, v13
	v_pk_fma_f32 v[20:21], v[250:251], s[8:9], v[18:19] op_sel:[0,0,1] op_sel_hi:[1,0,0]
	v_pk_fma_f32 v[18:19], v[250:251], s[8:9], v[18:19] op_sel:[0,0,1] op_sel_hi:[1,0,0] neg_lo:[0,0,1] neg_hi:[0,0,1]
	v_mov_b32_e32 v22, v20
	v_mov_b32_e32 v23, v19
	v_pk_add_f32 v[4:5], v[22:23], v[4:5]
	v_pk_mul_f32 v[22:23], v[86:87], s[42:43] op_sel_hi:[1,0]
	v_pk_add_f32 v[0:1], v[10:11], v[0:1]
	v_pk_fma_f32 v[156:157], v[254:255], s[16:17], v[22:23] op_sel:[0,0,1] op_sel_hi:[1,0,0]
	v_pk_fma_f32 v[22:23], v[254:255], s[16:17], v[22:23] op_sel:[0,0,1] op_sel_hi:[1,0,0] neg_lo:[0,0,1] neg_hi:[0,0,1]
	v_mov_b32_e32 v166, v156
	v_mov_b32_e32 v167, v23
	v_pk_add_f32 v[4:5], v[166:167], v[4:5]
	v_pk_mul_f32 v[166:167], v[90:91], s[28:29] op_sel_hi:[1,0]
	v_mov_b32_e32 v15, v17
	v_pk_fma_f32 v[160:161], v[88:89], s[18:19], v[166:167] op_sel:[0,0,1] op_sel_hi:[1,0,0]
	v_pk_fma_f32 v[166:167], v[88:89], s[18:19], v[166:167] op_sel:[0,0,1] op_sel_hi:[1,0,0] neg_lo:[0,0,1] neg_hi:[0,0,1]
	v_mov_b32_e32 v158, v160
	v_mov_b32_e32 v159, v167
	v_pk_add_f32 v[4:5], v[158:159], v[4:5]
	v_pk_mul_f32 v[158:159], v[94:95], s[30:31] op_sel_hi:[1,0]
	v_pk_add_f32 v[0:1], v[14:15], v[0:1]
	v_pk_fma_f32 v[32:33], v[92:93], s[14:15], v[158:159] op_sel:[0,0,1] op_sel_hi:[1,0,0]
	v_pk_fma_f32 v[158:159], v[92:93], s[14:15], v[158:159] op_sel:[0,0,1] op_sel_hi:[1,0,0] neg_lo:[0,0,1] neg_hi:[0,0,1]
	v_mov_b32_e32 v70, v32
	v_mov_b32_e32 v71, v159
	v_pk_add_f32 v[4:5], v[70:71], v[4:5]
	v_mov_b32_e32 v70, v24
	v_mov_b32_e32 v71, v35
	v_pk_add_f32 v[26:27], v[56:57], v[70:71]
	v_pk_mul_f32 v[70:71], v[240:241], s[30:31] op_sel_hi:[1,0]
	v_mov_b32_e32 v35, v25
	v_pk_fma_f32 v[28:29], v[238:239], s[14:15], v[70:71] op_sel:[0,0,1] op_sel_hi:[1,0,0]
	v_pk_fma_f32 v[30:31], v[238:239], s[14:15], v[70:71] op_sel:[0,0,1] op_sel_hi:[1,0,0] neg_lo:[0,0,1] neg_hi:[0,0,1]
	v_mov_b32_e32 v70, v28
	v_mov_b32_e32 v71, v31
	v_pk_add_f32 v[26:27], v[70:71], v[26:27]
	v_pk_mul_f32 v[70:71], v[244:245], s[36:37] op_sel_hi:[1,0]
	v_mov_b32_e32 v31, v29
	v_pk_fma_f32 v[38:39], v[242:243], s[8:9], v[70:71] op_sel:[0,0,1] op_sel_hi:[1,0,0]
	v_pk_fma_f32 v[70:71], v[242:243], s[8:9], v[70:71] op_sel:[0,0,1] op_sel_hi:[1,0,0] neg_lo:[0,0,1] neg_hi:[0,0,1]
	;; [unrolled: 7-line block ×4, first 2 shown]
	v_mov_b32_e32 v44, v46
	v_mov_b32_e32 v45, v41
	v_pk_add_f32 v[26:27], v[44:45], v[26:27]
	v_pk_mul_f32 v[44:45], v[86:87], s[28:29] op_sel_hi:[1,0]
	v_pk_mul_f32 v[86:87], v[86:87], s[30:31] op_sel_hi:[1,0]
	v_pk_fma_f32 v[50:51], v[254:255], s[18:19], v[44:45] op_sel:[0,0,1] op_sel_hi:[1,0,0]
	v_pk_fma_f32 v[44:45], v[254:255], s[18:19], v[44:45] op_sel:[0,0,1] op_sel_hi:[1,0,0] neg_lo:[0,0,1] neg_hi:[0,0,1]
	v_mov_b32_e32 v48, v50
	v_mov_b32_e32 v49, v45
	v_pk_add_f32 v[26:27], v[48:49], v[26:27]
	v_pk_mul_f32 v[48:49], v[90:91], s[38:39] op_sel_hi:[1,0]
	v_pk_mul_f32 v[90:91], v[90:91], s[22:23] op_sel_hi:[1,0]
	v_pk_fma_f32 v[54:55], v[88:89], s[16:17], v[48:49] op_sel:[0,0,1] op_sel_hi:[1,0,0]
	v_pk_fma_f32 v[48:49], v[88:89], s[16:17], v[48:49] op_sel:[0,0,1] op_sel_hi:[1,0,0] neg_lo:[0,0,1] neg_hi:[0,0,1]
	;; [unrolled: 7-line block ×3, first 2 shown]
	v_mov_b32_e32 v2, v8
	v_mov_b32_e32 v3, v53
	v_pk_add_f32 v[2:3], v[2:3], v[26:27]
	ds_write2_b64 v66, v[4:5], v[2:3] offset0:6 offset1:7
	v_pk_mul_f32 v[2:3], v[236:237], s[28:29] op_sel_hi:[1,0]
	v_pk_mul_f32 v[26:27], v[240:241], s[40:41] op_sel_hi:[1,0]
	v_pk_fma_f32 v[4:5], v[234:235], s[18:19], v[2:3] op_sel:[0,0,1] op_sel_hi:[1,0,0]
	v_pk_fma_f32 v[2:3], v[234:235], s[18:19], v[2:3] op_sel:[0,0,1] op_sel_hi:[1,0,0] neg_lo:[0,0,1] neg_hi:[0,0,1]
	v_pk_fma_f32 v[234:235], v[238:239], s[0:1], v[26:27] op_sel:[0,0,1] op_sel_hi:[1,0,0]
	v_pk_fma_f32 v[26:27], v[238:239], s[0:1], v[26:27] op_sel:[0,0,1] op_sel_hi:[1,0,0] neg_lo:[0,0,1] neg_hi:[0,0,1]
	v_mov_b32_e32 v236, v4
	v_mov_b32_e32 v237, v3
	v_pk_add_f32 v[236:237], v[56:57], v[236:237]
	v_mov_b32_e32 v238, v234
	v_mov_b32_e32 v239, v27
	v_pk_add_f32 v[236:237], v[238:239], v[236:237]
	v_pk_mul_f32 v[238:239], v[244:245], s[26:27] op_sel_hi:[1,0]
	v_mov_b32_e32 v3, v5
	v_pk_fma_f32 v[240:241], v[242:243], s[20:21], v[238:239] op_sel:[0,0,1] op_sel_hi:[1,0,0]
	v_pk_fma_f32 v[238:239], v[242:243], s[20:21], v[238:239] op_sel:[0,0,1] op_sel_hi:[1,0,0] neg_lo:[0,0,1] neg_hi:[0,0,1]
	v_mov_b32_e32 v242, v240
	v_mov_b32_e32 v243, v239
	v_pk_add_f32 v[236:237], v[242:243], v[236:237]
	v_pk_mul_f32 v[242:243], v[248:249], s[38:39] op_sel_hi:[1,0]
	v_mov_b32_e32 v27, v235
	v_pk_fma_f32 v[244:245], v[246:247], s[16:17], v[242:243] op_sel:[0,0,1] op_sel_hi:[1,0,0]
	v_pk_fma_f32 v[242:243], v[246:247], s[16:17], v[242:243] op_sel:[0,0,1] op_sel_hi:[1,0,0] neg_lo:[0,0,1] neg_hi:[0,0,1]
	v_mov_b32_e32 v246, v244
	v_mov_b32_e32 v247, v243
	v_pk_add_f32 v[236:237], v[246:247], v[236:237]
	v_pk_mul_f32 v[246:247], v[252:253], s[24:25] op_sel_hi:[1,0]
	v_pk_add_f32 v[2:3], v[56:57], v[2:3]
	v_pk_fma_f32 v[248:249], v[250:251], s[12:13], v[246:247] op_sel:[0,0,1] op_sel_hi:[1,0,0]
	v_pk_fma_f32 v[246:247], v[250:251], s[12:13], v[246:247] op_sel:[0,0,1] op_sel_hi:[1,0,0] neg_lo:[0,0,1] neg_hi:[0,0,1]
	v_mov_b32_e32 v250, v248
	v_mov_b32_e32 v251, v247
	v_pk_add_f32 v[236:237], v[250:251], v[236:237]
	v_pk_fma_f32 v[250:251], v[254:255], s[14:15], v[86:87] op_sel:[0,0,1] op_sel_hi:[1,0,0]
	v_pk_fma_f32 v[86:87], v[254:255], s[14:15], v[86:87] op_sel:[0,0,1] op_sel_hi:[1,0,0] neg_lo:[0,0,1] neg_hi:[0,0,1]
	v_pk_add_f32 v[2:3], v[26:27], v[2:3]
	v_mov_b32_e32 v239, v241
	v_mov_b32_e32 v252, v250
	v_mov_b32_e32 v253, v87
	v_pk_add_f32 v[2:3], v[238:239], v[2:3]
	v_mov_b32_e32 v243, v245
	v_pk_add_f32 v[236:237], v[252:253], v[236:237]
	v_pk_fma_f32 v[252:253], v[88:89], s[10:11], v[90:91] op_sel:[0,0,1] op_sel_hi:[1,0,0]
	v_pk_fma_f32 v[88:89], v[88:89], s[10:11], v[90:91] op_sel:[0,0,1] op_sel_hi:[1,0,0] neg_lo:[0,0,1] neg_hi:[0,0,1]
	v_pk_add_f32 v[2:3], v[242:243], v[2:3]
	v_mov_b32_e32 v247, v249
	v_mov_b32_e32 v90, v252
	v_mov_b32_e32 v91, v89
	v_pk_add_f32 v[2:3], v[246:247], v[2:3]
	;; [unrolled: 9-line block ×3, first 2 shown]
	v_mov_b32_e32 v93, v237
	v_pk_add_f32 v[90:91], v[94:95], v[90:91]
	v_pk_add_f32 v[2:3], v[92:93], v[2:3]
	ds_write2_b64 v66, v[90:91], v[2:3] offset0:8 offset1:9
	v_pk_add_f32 v[2:3], v[56:57], v[34:35]
	v_mov_b32_e32 v41, v47
	v_pk_add_f32 v[2:3], v[30:31], v[2:3]
	v_mov_b32_e32 v19, v21
	;; [unrolled: 2-line block ×3, first 2 shown]
	v_pk_add_f32 v[2:3], v[36:37], v[2:3]
	v_pk_add_f32 v[0:1], v[18:19], v[0:1]
	v_pk_add_f32 v[2:3], v[40:41], v[2:3]
	v_mov_b32_e32 v23, v157
	v_pk_add_f32 v[2:3], v[44:45], v[2:3]
	v_mov_b32_e32 v49, v55
	v_pk_add_f32 v[0:1], v[22:23], v[0:1]
	;; [unrolled: 2-line block ×5, first 2 shown]
	v_pk_add_f32 v[0:1], v[158:159], v[0:1]
	ds_write2_b64 v66, v[2:3], v[0:1] offset0:10 offset1:11
	v_pk_add_f32 v[0:1], v[56:57], v[152:153]
	v_pk_add_f32 v[2:3], v[56:57], v[96:97]
	;; [unrolled: 1-line block ×9, first 2 shown]
	v_mov_b32_e32 v143, v145
	v_pk_add_f32 v[2:3], v[116:117], v[2:3]
	v_mov_b32_e32 v121, v123
	v_pk_add_f32 v[0:1], v[142:143], v[0:1]
	;; [unrolled: 2-line block ×6, first 2 shown]
	v_pk_add_f32 v[2:3], v[148:149], v[2:3]
	v_mov_b32_e32 v205, v203
	v_mov_b32_e32 v173, v171
	ds_write2_b64 v66, v[0:1], v[2:3] offset0:12 offset1:13
	v_pk_add_f32 v[0:1], v[56:57], v[204:205]
	v_mov_b32_e32 v209, v207
	v_pk_add_f32 v[2:3], v[56:57], v[172:173]
	v_mov_b32_e32 v177, v175
	;; [unrolled: 2-line block ×14, first 2 shown]
	v_pk_add_f32 v[0:1], v[232:233], v[0:1]
	v_pk_add_f32 v[2:3], v[200:201], v[2:3]
	v_accvgpr_read_b32 v61, a81
	ds_write2_b64 v66, v[0:1], v[2:3] offset0:14 offset1:15
	v_pk_add_f32 v[0:1], v[56:57], v[60:61]
	v_accvgpr_read_b32 v65, a87
	v_pk_add_f32 v[0:1], v[64:65], v[0:1]
	v_accvgpr_read_b32 v69, a89
	;; [unrolled: 2-line block ×4, first 2 shown]
	v_pk_add_f32 v[0:1], v[78:79], v[0:1]
	v_mov_b32_e32 v83, v81
	v_pk_add_f32 v[0:1], v[82:83], v[0:1]
	v_mov_b32_e32 v165, v77
	;; [unrolled: 2-line block ×3, first 2 shown]
	v_pk_add_f32 v[0:1], v[168:169], v[0:1]
	ds_write_b64 v66, v[0:1] offset:128
	s_waitcnt lgkmcnt(0)
	; wave barrier
	s_waitcnt lgkmcnt(0)
	ds_read2_b64 v[56:59], v84 offset1:51
	v_accvgpr_read_b32 v2, a58
	v_accvgpr_read_b32 v3, a59
	v_mov_b32_e32 v0, v3
	ds_read2_b64 v[66:69], v84 offset0:102 offset1:153
	s_waitcnt lgkmcnt(1)
	v_pk_mul_f32 v[0:1], v[0:1], v[58:59] op_sel:[0,1] op_sel_hi:[1,0]
	v_accvgpr_read_b32 v5, a61
	v_pk_fma_f32 v[60:61], v[2:3], v[58:59], v[0:1]
	v_pk_mul_f32 v[0:1], v[2:3], v[58:59] op_sel:[0,1] op_sel_hi:[1,0]
	v_accvgpr_read_b32 v4, a60
	v_mov_b32_e32 v0, v1
	v_pk_fma_f32 v[58:59], v[2:3], v[58:59], v[0:1] op_sel:[0,1,0] op_sel_hi:[1,0,1] neg_lo:[0,0,1] neg_hi:[0,0,1]
	v_mov_b32_e32 v0, v5
	s_waitcnt lgkmcnt(0)
	v_pk_mul_f32 v[0:1], v[0:1], v[66:67] op_sel:[0,1] op_sel_hi:[1,0]
	ds_read2_b64 v[20:23], v84 offset0:204 offset1:255
	v_pk_fma_f32 v[10:11], v[4:5], v[66:67], v[0:1]
	v_pk_mul_f32 v[0:1], v[4:5], v[66:67] op_sel:[0,1] op_sel_hi:[1,0]
	v_accvgpr_read_b32 v238, a49
	v_mov_b32_e32 v0, v1
	v_pk_fma_f32 v[12:13], v[4:5], v[66:67], v[0:1] op_sel:[0,1,0] op_sel_hi:[1,0,1] neg_lo:[0,0,1] neg_hi:[0,0,1]
	v_accvgpr_read_b32 v2, a54
	v_accvgpr_read_b32 v3, a55
	v_mov_b32_e32 v0, v3
	v_pk_mul_f32 v[0:1], v[0:1], v[68:69] op_sel:[0,1] op_sel_hi:[1,0]
	v_accvgpr_read_b32 v5, a57
	v_pk_fma_f32 v[26:27], v[2:3], v[68:69], v[0:1]
	v_pk_mul_f32 v[0:1], v[2:3], v[68:69] op_sel:[0,1] op_sel_hi:[1,0]
	v_accvgpr_read_b32 v4, a56
	v_mov_b32_e32 v0, v1
	v_pk_fma_f32 v[28:29], v[2:3], v[68:69], v[0:1] op_sel:[0,1,0] op_sel_hi:[1,0,1] neg_lo:[0,0,1] neg_hi:[0,0,1]
	v_mov_b32_e32 v0, v5
	s_waitcnt lgkmcnt(0)
	v_pk_mul_f32 v[0:1], v[0:1], v[20:21] op_sel:[0,1] op_sel_hi:[1,0]
	ds_read2_b64 v[16:19], v238 offset0:50 offset1:101
	v_pk_fma_f32 v[30:31], v[4:5], v[20:21], v[0:1]
	v_pk_mul_f32 v[0:1], v[4:5], v[20:21] op_sel:[0,1] op_sel_hi:[1,0]
	ds_read2_b64 v[62:65], v238 offset0:152 offset1:203
	v_mov_b32_e32 v0, v1
	v_pk_fma_f32 v[32:33], v[4:5], v[20:21], v[0:1] op_sel:[0,1,0] op_sel_hi:[1,0,1] neg_lo:[0,0,1] neg_hi:[0,0,1]
	v_accvgpr_read_b32 v4, a40
	v_accvgpr_read_b32 v5, a41
	v_mov_b32_e32 v0, v5
	v_pk_mul_f32 v[0:1], v[0:1], v[22:23] op_sel:[0,1] op_sel_hi:[1,0]
	v_accvgpr_read_b32 v7, a43
	v_pk_fma_f32 v[2:3], v[4:5], v[22:23], v[0:1]
	v_pk_mul_f32 v[0:1], v[4:5], v[22:23] op_sel:[0,1] op_sel_hi:[1,0]
	v_accvgpr_read_b32 v6, a42
	v_mov_b32_e32 v0, v1
	v_pk_fma_f32 v[8:9], v[4:5], v[22:23], v[0:1] op_sel:[0,1,0] op_sel_hi:[1,0,1] neg_lo:[0,0,1] neg_hi:[0,0,1]
	v_mov_b32_e32 v0, v7
	s_waitcnt lgkmcnt(1)
	v_pk_mul_f32 v[0:1], v[0:1], v[16:17] op_sel:[0,1] op_sel_hi:[1,0]
	v_accvgpr_read_b32 v22, a36
	v_pk_fma_f32 v[34:35], v[6:7], v[16:17], v[0:1]
	v_pk_mul_f32 v[0:1], v[6:7], v[16:17] op_sel:[0,1] op_sel_hi:[1,0]
	v_accvgpr_read_b32 v23, a37
	v_mov_b32_e32 v0, v1
	v_pk_fma_f32 v[36:37], v[6:7], v[16:17], v[0:1] op_sel:[0,1,0] op_sel_hi:[1,0,1] neg_lo:[0,0,1] neg_hi:[0,0,1]
	v_mov_b32_e32 v0, v23
	v_pk_mul_f32 v[0:1], v[0:1], v[18:19] op_sel:[0,1] op_sel_hi:[1,0]
	v_accvgpr_read_b32 v14, a74
	v_pk_fma_f32 v[38:39], v[22:23], v[18:19], v[0:1]
	v_pk_mul_f32 v[0:1], v[22:23], v[18:19] op_sel:[0,1] op_sel_hi:[1,0]
	v_mov_b32_e32 v4, v57
	v_mov_b32_e32 v0, v1
	v_pk_fma_f32 v[40:41], v[22:23], v[18:19], v[0:1] op_sel:[0,1,0] op_sel_hi:[1,0,1] neg_lo:[0,0,1] neg_hi:[0,0,1]
	v_pk_add_f32 v[0:1], v[56:57], v[60:61]
	v_accvgpr_read_b32 v15, a75
	v_accvgpr_read_b32 v24, a38
	;; [unrolled: 1-line block ×3, first 2 shown]
	v_pk_add_f32 v[4:5], v[4:5], v[58:59]
	v_pk_add_f32 v[0:1], v[0:1], v[10:11]
	s_waitcnt lgkmcnt(0)
	v_pk_mul_f32 v[14:15], v[14:15], v[62:63]
	v_pk_add_f32 v[4:5], v[4:5], v[12:13]
	v_pk_add_f32 v[0:1], v[0:1], v[26:27]
	v_pk_fma_f32 v[46:47], v[24:25], v[62:63], v[14:15] op_sel:[0,0,1] op_sel_hi:[1,1,0]
	v_pk_fma_f32 v[48:49], v[24:25], v[62:63], v[14:15] op_sel:[0,0,1] op_sel_hi:[1,1,0] neg_lo:[0,0,1] neg_hi:[0,0,1]
	v_accvgpr_read_b32 v14, a132
	v_pk_add_f32 v[4:5], v[4:5], v[28:29]
	v_pk_add_f32 v[0:1], v[0:1], v[30:31]
	v_accvgpr_read_b32 v15, a133
	v_accvgpr_read_b32 v69, a47
	v_pk_add_f32 v[4:5], v[4:5], v[32:33]
	v_pk_add_f32 v[42:43], v[0:1], v[2:3]
	v_accvgpr_read_b32 v0, a79
	v_pk_mul_f32 v[14:15], v[14:15], v[64:65]
	v_accvgpr_read_b32 v67, a45
	v_accvgpr_read_b32 v66, a44
	v_pk_add_f32 v[44:45], v[4:5], v[8:9]
	ds_read2_b64 v[4:7], v0 offset0:126 offset1:177
	ds_read2_b64 v[16:19], v85 offset0:100 offset1:151
	;; [unrolled: 1-line block ×3, first 2 shown]
	ds_read_b64 v[0:1], v84 offset:6528
	v_pk_fma_f32 v[52:53], v[66:67], v[64:65], v[14:15] op_sel:[0,0,1] op_sel_hi:[1,1,0]
	v_pk_fma_f32 v[54:55], v[66:67], v[64:65], v[14:15] op_sel:[0,0,1] op_sel_hi:[1,1,0] neg_lo:[0,0,1] neg_hi:[0,0,1]
	v_accvgpr_read_b32 v14, a76
	v_accvgpr_read_b32 v15, a77
	;; [unrolled: 1-line block ×3, first 2 shown]
	s_waitcnt lgkmcnt(3)
	v_pk_mul_f32 v[14:15], v[14:15], v[4:5]
	v_accvgpr_read_b32 v75, a53
	v_pk_fma_f32 v[64:65], v[68:69], v[4:5], v[14:15] op_sel:[0,0,1] op_sel_hi:[1,1,0]
	v_pk_fma_f32 v[66:67], v[68:69], v[4:5], v[14:15] op_sel:[0,0,1] op_sel_hi:[1,1,0] neg_lo:[0,0,1] neg_hi:[0,0,1]
	v_accvgpr_read_b32 v4, a130
	v_accvgpr_read_b32 v5, a131
	v_pk_mul_f32 v[4:5], v[4:5], v[6:7]
	v_accvgpr_read_b32 v73, a51
	v_accvgpr_read_b32 v72, a50
	v_pk_fma_f32 v[70:71], v[72:73], v[6:7], v[4:5] op_sel:[0,0,1] op_sel_hi:[1,1,0]
	v_pk_fma_f32 v[4:5], v[72:73], v[6:7], v[4:5] op_sel:[0,0,1] op_sel_hi:[1,1,0] neg_lo:[0,0,1] neg_hi:[0,0,1]
	v_accvgpr_read_b32 v6, a84
	v_accvgpr_read_b32 v7, a85
	;; [unrolled: 1-line block ×3, first 2 shown]
	s_waitcnt lgkmcnt(2)
	v_pk_mul_f32 v[6:7], v[6:7], v[16:17]
	v_accvgpr_read_b32 v89, a65
	v_pk_fma_f32 v[14:15], v[74:75], v[16:17], v[6:7] op_sel:[0,0,1] op_sel_hi:[1,1,0]
	v_pk_fma_f32 v[6:7], v[74:75], v[16:17], v[6:7] op_sel:[0,0,1] op_sel_hi:[1,1,0] neg_lo:[0,0,1] neg_hi:[0,0,1]
	v_accvgpr_read_b32 v16, a128
	v_accvgpr_read_b32 v17, a129
	v_pk_mul_f32 v[16:17], v[16:17], v[18:19]
	v_accvgpr_read_b32 v87, a63
	v_accvgpr_read_b32 v86, a62
	v_pk_fma_f32 v[76:77], v[86:87], v[18:19], v[16:17] op_sel:[0,0,1] op_sel_hi:[1,1,0]
	v_pk_fma_f32 v[78:79], v[86:87], v[18:19], v[16:17] op_sel:[0,0,1] op_sel_hi:[1,1,0] neg_lo:[0,0,1] neg_hi:[0,0,1]
	v_accvgpr_read_b32 v16, a82
	v_accvgpr_read_b32 v17, a83
	;; [unrolled: 1-line block ×3, first 2 shown]
	s_waitcnt lgkmcnt(1)
	v_pk_mul_f32 v[16:17], v[16:17], v[20:21]
	v_mov_b32_e32 v74, v14
	v_pk_fma_f32 v[82:83], v[88:89], v[20:21], v[16:17] op_sel:[0,0,1] op_sel_hi:[1,1,0]
	v_pk_fma_f32 v[86:87], v[88:89], v[20:21], v[16:17] op_sel:[0,0,1] op_sel_hi:[1,1,0] neg_lo:[0,0,1] neg_hi:[0,0,1]
	v_accvgpr_read_b32 v16, a126
	v_accvgpr_read_b32 v17, a127
	;; [unrolled: 1-line block ×3, first 2 shown]
	v_pk_mul_f32 v[16:17], v[16:17], v[22:23]
	v_accvgpr_read_b32 v19, a67
	v_pk_fma_f32 v[90:91], v[18:19], v[22:23], v[16:17] op_sel:[0,0,1] op_sel_hi:[1,1,0]
	v_pk_fma_f32 v[92:93], v[18:19], v[22:23], v[16:17] op_sel:[0,0,1] op_sel_hi:[1,1,0] neg_lo:[0,0,1] neg_hi:[0,0,1]
	v_accvgpr_read_b32 v16, a102
	v_accvgpr_read_b32 v17, a103
	;; [unrolled: 1-line block ×4, first 2 shown]
	s_waitcnt lgkmcnt(0)
	v_pk_mul_f32 v[16:17], v[16:17], v[0:1]
	v_mov_b32_e32 v75, v7
	v_pk_fma_f32 v[96:97], v[20:21], v[0:1], v[16:17] op_sel:[0,0,1] op_sel_hi:[1,1,0]
	v_pk_fma_f32 v[0:1], v[20:21], v[0:1], v[16:17] op_sel:[0,0,1] op_sel_hi:[1,1,0] neg_lo:[0,0,1] neg_hi:[0,0,1]
	v_pk_add_f32 v[98:99], v[8:9], v[6:7] op_sel:[0,1] neg_lo:[0,1] neg_hi:[0,1]
	v_mov_b32_e32 v97, v1
	v_pk_add_f32 v[0:1], v[2:3], v[14:15]
	v_pk_add_f32 v[2:3], v[2:3], v[14:15] neg_lo:[0,1] neg_hi:[0,1]
	v_pk_add_f32 v[14:15], v[8:9], v[6:7] op_sel_hi:[0,1]
	v_mov_b32_e32 v1, v2
	v_pk_add_f32 v[2:3], v[34:35], v[70:71]
	v_pk_add_f32 v[6:7], v[34:35], v[70:71] neg_lo:[0,1] neg_hi:[0,1]
	v_mov_b32_e32 v72, v70
	v_mov_b32_e32 v73, v5
	v_mov_b32_e32 v3, v6
	v_pk_add_f32 v[70:71], v[36:37], v[4:5] op_sel:[0,1] neg_lo:[0,1] neg_hi:[0,1]
	v_pk_add_f32 v[16:17], v[36:37], v[4:5] op_sel_hi:[0,1]
	v_pk_add_f32 v[4:5], v[38:39], v[64:65]
	v_pk_add_f32 v[6:7], v[38:39], v[64:65] neg_lo:[0,1] neg_hi:[0,1]
	v_pk_add_f32 v[8:9], v[46:47], v[52:53] neg_lo:[0,1] neg_hi:[0,1]
	v_mov_b32_e32 v5, v6
	v_pk_add_f32 v[6:7], v[46:47], v[52:53]
	v_mov_b32_e32 v43, v44
	v_mov_b32_e32 v35, v36
	v_mov_b32_e32 v7, v8
	v_pk_add_f32 v[8:9], v[42:43], v[34:35]
	v_mov_b32_e32 v39, v40
	v_mov_b32_e32 v50, v46
	;; [unrolled: 4-line block ×3, first 2 shown]
	v_pk_add_f32 v[8:9], v[8:9], v[50:51]
	v_mov_b32_e32 v68, v64
	v_mov_b32_e32 v69, v67
	v_pk_add_f32 v[8:9], v[8:9], v[62:63]
	v_mov_b32_e32 v80, v76
	v_pk_add_f32 v[8:9], v[8:9], v[68:69]
	;; [unrolled: 2-line block ×5, first 2 shown]
	v_mov_b32_e32 v94, v90
	v_mov_b32_e32 v95, v93
	v_pk_add_f32 v[8:9], v[8:9], v[88:89]
	s_mov_b32 s17, s42
	v_pk_add_f32 v[8:9], v[8:9], v[94:95]
	v_pk_add_f32 v[130:131], v[12:13], v[92:93] op_sel_hi:[0,1]
	v_pk_add_f32 v[34:35], v[8:9], v[96:97]
	v_pk_add_f32 v[8:9], v[10:11], v[90:91]
	v_pk_add_f32 v[10:11], v[10:11], v[90:91] neg_lo:[0,1] neg_hi:[0,1]
	s_mov_b32 s43, s16
	v_mov_b32_e32 v9, v10
	v_pk_add_f32 v[10:11], v[12:13], v[92:93] op_sel:[0,1] neg_lo:[0,1] neg_hi:[0,1]
	v_pk_mul_f32 v[36:37], v[8:9], s[16:17]
	v_mov_b32_e32 v130, v10
	v_pk_fma_f32 v[38:39], v[10:11], s[42:43], v[36:37] neg_lo:[1,0,0] neg_hi:[1,0,0]
	v_pk_add_f32 v[10:11], v[26:27], v[82:83]
	v_pk_add_f32 v[12:13], v[26:27], v[82:83] neg_lo:[0,1] neg_hi:[0,1]
	v_pk_add_f32 v[26:27], v[28:29], v[86:87] op_sel:[0,1] neg_lo:[0,1] neg_hi:[0,1]
	v_mov_b32_e32 v11, v12
	v_pk_add_f32 v[126:127], v[28:29], v[86:87] op_sel_hi:[0,1]
	v_pk_add_f32 v[12:13], v[30:31], v[76:77]
	v_pk_add_f32 v[30:31], v[30:31], v[76:77] neg_lo:[0,1] neg_hi:[0,1]
	v_mov_b32_e32 v126, v26
	s_mov_b32 s47, s14
	v_pk_mul_f32 v[28:29], v[10:11], s[56:57]
	v_mov_b32_e32 v13, v30
	v_pk_add_f32 v[30:31], v[32:33], v[78:79] op_sel:[0,1] neg_lo:[0,1] neg_hi:[0,1]
	v_pk_add_f32 v[128:129], v[32:33], v[78:79] op_sel_hi:[0,1]
	s_mov_b32 s9, s36
	v_pk_fma_f32 v[42:43], v[26:27], s[46:47], v[28:29] neg_lo:[1,0,0] neg_hi:[1,0,0]
	v_pk_fma_f32 v[44:45], v[126:127], s[46:47], v[28:29]
	v_mov_b32_e32 v128, v30
	s_mov_b32 s37, s8
	v_pk_mul_f32 v[32:33], v[12:13], s[8:9]
	v_pk_fma_f32 v[28:29], v[126:127], s[46:47], v[28:29] neg_lo:[0,0,1] neg_hi:[0,0,1]
	v_mov_b32_e32 v14, v98
	s_mov_b32 s11, s48
	v_pk_add_f32 v[46:47], v[48:49], v[54:55] neg_lo:[0,1] neg_hi:[0,1]
	v_pk_add_f32 v[20:21], v[48:49], v[54:55]
	v_mov_b32_e32 v43, v45
	v_pk_fma_f32 v[48:49], v[30:31], s[36:37], v[32:33] neg_lo:[1,0,0] neg_hi:[1,0,0]
	v_pk_fma_f32 v[50:51], v[128:129], s[36:37], v[32:33]
	s_mov_b32 s13, s24
	s_mov_b32 s23, s10
	v_pk_mul_f32 v[72:73], v[0:1], s[62:63]
	v_mov_b32_e32 v45, v29
	v_pk_fma_f32 v[28:29], v[128:129], s[36:37], v[32:33] neg_lo:[0,0,1] neg_hi:[0,0,1]
	v_mov_b32_e32 v16, v70
	s_mov_b32 s49, s10
	v_pk_mul_f32 v[102:103], v[2:3], s[10:11]
	v_pk_add_f32 v[64:65], v[40:41], v[66:67] op_sel:[0,1] neg_lo:[0,1] neg_hi:[0,1]
	v_pk_add_f32 v[18:19], v[40:41], v[66:67] op_sel_hi:[0,1]
	s_mov_b32 s15, s30
	v_mov_b32_e32 v49, v51
	s_mov_b32 s25, s12
	v_pk_fma_f32 v[74:75], v[98:99], s[22:23], v[72:73] neg_lo:[1,0,0] neg_hi:[1,0,0]
	v_pk_fma_f32 v[76:77], v[14:15], s[22:23], v[72:73]
	v_pk_mul_f32 v[78:79], v[2:3], s[12:13]
	v_mov_b32_e32 v51, v29
	v_pk_fma_f32 v[28:29], v[14:15], s[22:23], v[72:73] neg_lo:[0,0,1] neg_hi:[0,0,1]
	v_pk_fma_f32 v[104:105], v[70:71], s[48:49], v[102:103] neg_lo:[1,0,0] neg_hi:[1,0,0]
	v_mov_b32_e32 v18, v64
	s_mov_b32 s31, s14
	v_pk_mul_f32 v[66:67], v[4:5], s[14:15]
	s_mov_b32 s19, s28
	v_mov_b32_e32 v75, v77
	v_pk_fma_f32 v[70:71], v[70:71], s[24:25], v[78:79] neg_lo:[1,0,0] neg_hi:[1,0,0]
	v_pk_fma_f32 v[80:81], v[16:17], s[24:25], v[78:79]
	s_mov_b32 s27, s20
	v_pk_mul_f32 v[82:83], v[4:5], s[58:59]
	v_mov_b32_e32 v77, v29
	v_pk_fma_f32 v[28:29], v[16:17], s[24:25], v[78:79] neg_lo:[0,0,1] neg_hi:[0,0,1]
	v_pk_fma_f32 v[108:109], v[64:65], s[30:31], v[66:67] neg_lo:[1,0,0] neg_hi:[1,0,0]
	v_mov_b32_e32 v20, v47
	s_mov_b32 s29, s18
	v_mov_b32_e32 v71, v81
	v_pk_fma_f32 v[64:65], v[64:65], s[26:27], v[82:83] neg_lo:[1,0,0] neg_hi:[1,0,0]
	v_pk_fma_f32 v[86:87], v[18:19], s[26:27], v[82:83]
	v_pk_mul_f32 v[88:89], v[6:7], s[18:19]
	v_mov_b32_e32 v81, v29
	v_pk_fma_f32 v[28:29], v[18:19], s[26:27], v[82:83] neg_lo:[0,0,1] neg_hi:[0,0,1]
	v_mov_b32_e32 v61, v58
	v_mov_b32_e32 v65, v87
	v_pk_fma_f32 v[90:91], v[46:47], s[28:29], v[88:89] op_sel:[1,0,0] neg_lo:[1,0,0] neg_hi:[1,0,0]
	v_pk_fma_f32 v[92:93], v[20:21], s[28:29], v[88:89]
	v_mov_b32_e32 v87, v29
	v_pk_fma_f32 v[28:29], v[20:21], s[28:29], v[88:89] neg_lo:[0,0,1] neg_hi:[0,0,1]
	v_pk_add_f32 v[186:187], v[60:61], v[96:97] neg_lo:[0,1] neg_hi:[0,1]
	s_mov_b32 s21, s52
	v_mov_b32_e32 v91, v93
	v_mov_b32_e32 v93, v29
	v_pk_add_f32 v[184:185], v[60:61], v[96:97]
	v_pk_mul_f32 v[28:29], v[186:187], s[42:43] op_sel_hi:[1,0]
	s_mov_b32 s53, s20
	v_pk_mul_f32 v[100:101], v[0:1], s[20:21]
	v_pk_fma_f32 v[40:41], v[130:131], s[42:43], v[36:37]
	v_pk_fma_f32 v[36:37], v[130:131], s[42:43], v[36:37] neg_lo:[0,0,1] neg_hi:[0,0,1]
	v_pk_fma_f32 v[32:33], v[184:185], s[16:17], v[28:29] op_sel:[0,0,1] op_sel_hi:[1,0,0]
	v_pk_fma_f32 v[28:29], v[184:185], s[16:17], v[28:29] op_sel:[0,0,1] op_sel_hi:[1,0,0] neg_lo:[0,0,1] neg_hi:[0,0,1]
	v_pk_fma_f32 v[22:23], v[98:99], s[52:53], v[100:101] neg_lo:[1,0,0] neg_hi:[1,0,0]
	v_pk_fma_f32 v[24:25], v[14:15], s[52:53], v[100:101]
	v_mov_b32_e32 v39, v41
	v_mov_b32_e32 v41, v37
	;; [unrolled: 1-line block ×5, first 2 shown]
	v_pk_fma_f32 v[32:33], v[14:15], s[52:53], v[100:101] neg_lo:[0,0,1] neg_hi:[0,0,1]
	v_mov_b32_e32 v23, v25
	v_pk_fma_f32 v[106:107], v[16:17], s[48:49], v[102:103]
	v_mov_b32_e32 v25, v33
	v_pk_fma_f32 v[32:33], v[16:17], s[48:49], v[102:103] neg_lo:[0,0,1] neg_hi:[0,0,1]
	v_mov_b32_e32 v105, v107
	v_pk_fma_f32 v[110:111], v[18:19], s[30:31], v[66:67]
	v_mov_b32_e32 v107, v33
	v_pk_fma_f32 v[32:33], v[18:19], s[30:31], v[66:67] neg_lo:[0,0,1] neg_hi:[0,0,1]
	v_mov_b32_e32 v58, v184
	v_mov_b32_e32 v59, v186
	v_mov_b32_e32 v109, v111
	v_mov_b32_e32 v111, v33
	v_mov_b32_e32 v32, v187
	v_mov_b32_e32 v33, v185
	s_mov_b32 s35, s0
	v_pk_mul_f32 v[58:59], v[58:59], s[60:61]
	v_pk_mul_f32 v[52:53], v[10:11], s[12:13]
	v_pk_fma_f32 v[60:61], v[32:33], s[34:35], v[58:59] neg_lo:[1,0,0] neg_hi:[1,0,0]
	v_pk_fma_f32 v[66:67], v[32:33], s[34:35], v[58:59]
	v_pk_fma_f32 v[26:27], v[26:27], s[24:25], v[52:53] neg_lo:[1,0,0] neg_hi:[1,0,0]
	v_mov_b32_e32 v61, v67
	v_pk_add_f32 v[60:61], v[56:57], v[60:61]
	v_pk_fma_f32 v[54:55], v[126:127], s[24:25], v[52:53]
	v_pk_add_f32 v[38:39], v[38:39], v[60:61]
	v_pk_mul_f32 v[60:61], v[130:131], s[36:37]
	v_pk_mul_f32 v[62:63], v[12:13], s[18:19]
	v_pk_fma_f32 v[72:73], v[8:9], s[8:9], v[60:61]
	v_pk_fma_f32 v[78:79], v[8:9], s[8:9], v[60:61] neg_lo:[1,0,0] neg_hi:[1,0,0]
	v_pk_fma_f32 v[60:61], v[8:9], s[8:9], v[60:61] neg_lo:[0,0,1] neg_hi:[0,0,1]
	v_pk_add_f32 v[28:29], v[56:57], v[28:29]
	v_mov_b32_e32 v61, v73
	v_mov_b32_e32 v27, v55
	v_pk_fma_f32 v[30:31], v[30:31], s[28:29], v[62:63] neg_lo:[1,0,0] neg_hi:[1,0,0]
	v_pk_fma_f32 v[68:69], v[128:129], s[28:29], v[62:63]
	v_pk_add_f32 v[28:29], v[60:61], v[28:29]
	v_mov_b32_e32 v31, v69
	v_pk_add_f32 v[26:27], v[26:27], v[28:29]
	s_mov_b32 s1, s40
	v_pk_add_f32 v[36:37], v[56:57], v[36:37]
	v_mov_b32_e32 v78, v72
	v_pk_add_f32 v[38:39], v[42:43], v[38:39]
	v_pk_fma_f32 v[42:43], v[126:127], s[24:25], v[52:53] neg_lo:[0,0,1] neg_hi:[0,0,1]
	v_pk_add_f32 v[26:27], v[30:31], v[26:27]
	s_mov_b32 s41, s0
	v_pk_mul_f32 v[94:95], v[6:7], s[0:1]
	v_pk_add_f32 v[36:37], v[78:79], v[36:37]
	v_mov_b32_e32 v55, v43
	v_pk_fma_f32 v[28:29], v[128:129], s[28:29], v[62:63] neg_lo:[0,0,1] neg_hi:[0,0,1]
	v_pk_add_f32 v[22:23], v[22:23], v[26:27]
	v_pk_fma_f32 v[46:47], v[46:47], s[40:41], v[94:95] op_sel:[1,0,0] neg_lo:[1,0,0] neg_hi:[1,0,0]
	v_pk_fma_f32 v[98:99], v[20:21], s[40:41], v[94:95]
	v_pk_add_f32 v[36:37], v[54:55], v[36:37]
	v_mov_b32_e32 v69, v29
	v_pk_add_f32 v[22:23], v[104:105], v[22:23]
	v_mov_b32_e32 v47, v99
	v_pk_add_f32 v[28:29], v[68:69], v[36:37]
	v_pk_add_f32 v[22:23], v[108:109], v[22:23]
	v_pk_add_f32 v[24:25], v[24:25], v[28:29]
	v_pk_add_f32 v[28:29], v[46:47], v[22:23]
	v_pk_fma_f32 v[22:23], v[32:33], s[34:35], v[58:59] neg_lo:[0,0,1] neg_hi:[0,0,1]
	v_pk_add_f32 v[38:39], v[48:49], v[38:39]
	v_mov_b32_e32 v67, v23
	v_pk_add_f32 v[22:23], v[56:57], v[66:67]
	v_pk_add_f32 v[30:31], v[74:75], v[38:39]
	;; [unrolled: 1-line block ×3, first 2 shown]
	v_pk_mul_f32 v[48:49], v[186:187], s[46:47] op_sel_hi:[1,0]
	v_pk_add_f32 v[22:23], v[44:45], v[22:23]
	v_pk_add_f32 v[26:27], v[70:71], v[30:31]
	v_pk_add_f32 v[22:23], v[50:51], v[22:23]
	v_pk_mul_f32 v[66:67], v[130:131], s[24:25]
	v_pk_add_f32 v[22:23], v[76:77], v[22:23]
	s_mov_b32 s55, s18
	v_pk_add_f32 v[22:23], v[80:81], v[22:23]
	v_pk_fma_f32 v[82:83], v[184:185], s[14:15], v[48:49] op_sel:[0,0,1] op_sel_hi:[1,0,0]
	v_pk_fma_f32 v[124:125], v[184:185], s[14:15], v[48:49] op_sel:[0,0,1] op_sel_hi:[1,0,0] neg_lo:[0,0,1] neg_hi:[0,0,1]
	v_pk_add_f32 v[26:27], v[64:65], v[26:27]
	v_pk_add_f32 v[22:23], v[86:87], v[22:23]
	v_pk_fma_f32 v[64:65], v[8:9], s[12:13], v[66:67]
	v_pk_fma_f32 v[40:41], v[8:9], s[12:13], v[66:67] neg_lo:[1,0,0] neg_hi:[1,0,0]
	v_pk_mul_f32 v[68:69], v[126:127], s[54:55]
	v_mov_b32_e32 v48, v82
	v_mov_b32_e32 v49, v125
	v_pk_add_f32 v[24:25], v[106:107], v[24:25]
	v_pk_add_f32 v[30:31], v[90:91], v[26:27]
	v_pk_fma_f32 v[26:27], v[20:21], s[40:41], v[94:95] neg_lo:[0,0,1] neg_hi:[0,0,1]
	v_pk_add_f32 v[22:23], v[92:93], v[22:23]
	v_accvgpr_read_b32 v220, a19
	s_mov_b32 s39, s16
	v_mov_b32_e32 v40, v64
	v_pk_fma_f32 v[146:147], v[10:11], s[66:67], v[68:69]
	v_pk_fma_f32 v[42:43], v[10:11], s[66:67], v[68:69] neg_lo:[1,0,0] neg_hi:[1,0,0]
	v_pk_mul_f32 v[76:77], v[128:129], s[48:49]
	v_pk_add_f32 v[48:49], v[56:57], v[48:49]
	s_waitcnt lgkmcnt(0)
	; wave barrier
	v_pk_add_f32 v[24:25], v[110:111], v[24:25]
	v_mov_b32_e32 v99, v27
	ds_write2_b64 v220, v[34:35], v[22:23] offset1:17
	v_pk_mul_f32 v[22:23], v[14:15], s[38:39]
	v_mov_b32_e32 v42, v146
	v_pk_fma_f32 v[74:75], v[12:13], s[10:11], v[76:77]
	v_pk_fma_f32 v[44:45], v[12:13], s[10:11], v[76:77] neg_lo:[1,0,0] neg_hi:[1,0,0]
	v_pk_add_f32 v[40:41], v[40:41], v[48:49]
	v_pk_add_f32 v[36:37], v[98:99], v[24:25]
	v_pk_fma_f32 v[24:25], v[0:1], s[64:65], v[22:23]
	v_pk_fma_f32 v[32:33], v[0:1], s[64:65], v[22:23] neg_lo:[1,0,0] neg_hi:[1,0,0]
	v_pk_mul_f32 v[58:59], v[16:17], s[34:35]
	v_mov_b32_e32 v44, v74
	v_pk_add_f32 v[40:41], v[42:43], v[40:41]
	v_mov_b32_e32 v32, v24
	v_pk_fma_f32 v[26:27], v[2:3], s[60:61], v[58:59]
	v_pk_fma_f32 v[34:35], v[2:3], s[60:61], v[58:59] neg_lo:[1,0,0] neg_hi:[1,0,0]
	v_pk_mul_f32 v[62:63], v[18:19], s[36:37]
	v_pk_add_f32 v[40:41], v[44:45], v[40:41]
	v_mov_b32_e32 v34, v26
	v_pk_fma_f32 v[60:61], v[4:5], s[8:9], v[62:63]
	v_pk_fma_f32 v[38:39], v[4:5], s[8:9], v[62:63] neg_lo:[1,0,0] neg_hi:[1,0,0]
	v_pk_mul_f32 v[80:81], v[20:21], s[26:27]
	v_pk_add_f32 v[32:33], v[32:33], v[40:41]
	v_mov_b32_e32 v38, v60
	v_pk_fma_f32 v[78:79], v[6:7], s[58:59], v[80:81]
	v_pk_fma_f32 v[46:47], v[6:7], s[58:59], v[80:81] neg_lo:[1,0,0] neg_hi:[1,0,0]
	v_pk_add_f32 v[32:33], v[34:35], v[32:33]
	v_mov_b32_e32 v46, v78
	v_pk_add_f32 v[32:33], v[38:39], v[32:33]
	v_pk_mul_f32 v[166:167], v[130:131], s[28:29]
	v_pk_add_f32 v[32:33], v[46:47], v[32:33]
	v_pk_mul_f32 v[46:47], v[186:187], s[36:37] op_sel_hi:[1,0]
	v_pk_fma_f32 v[164:165], v[8:9], s[18:19], v[166:167]
	v_pk_fma_f32 v[180:181], v[184:185], s[8:9], v[46:47] op_sel:[0,0,1] op_sel_hi:[1,0,0]
	v_pk_fma_f32 v[182:183], v[184:185], s[8:9], v[46:47] op_sel:[0,0,1] op_sel_hi:[1,0,0] neg_lo:[0,0,1] neg_hi:[0,0,1]
	v_pk_fma_f32 v[38:39], v[8:9], s[18:19], v[166:167] neg_lo:[1,0,0] neg_hi:[1,0,0]
	v_pk_mul_f32 v[170:171], v[126:127], s[48:49]
	v_mov_b32_e32 v46, v180
	v_mov_b32_e32 v47, v183
	;; [unrolled: 1-line block ×3, first 2 shown]
	v_pk_fma_f32 v[168:169], v[10:11], s[10:11], v[170:171]
	v_pk_fma_f32 v[40:41], v[10:11], s[10:11], v[170:171] neg_lo:[1,0,0] neg_hi:[1,0,0]
	v_pk_mul_f32 v[174:175], v[128:129], s[40:41]
	v_pk_add_f32 v[46:47], v[56:57], v[46:47]
	v_pk_mul_f32 v[154:155], v[14:15], s[46:47]
	v_mov_b32_e32 v40, v168
	v_pk_fma_f32 v[172:173], v[12:13], s[0:1], v[174:175]
	v_pk_fma_f32 v[42:43], v[12:13], s[0:1], v[174:175] neg_lo:[1,0,0] neg_hi:[1,0,0]
	v_pk_add_f32 v[38:39], v[38:39], v[46:47]
	ds_write2_b64 v220, v[36:37], v[32:33] offset0:34 offset1:51
	v_pk_fma_f32 v[132:133], v[0:1], s[56:57], v[154:155]
	v_pk_fma_f32 v[32:33], v[0:1], s[56:57], v[154:155] neg_lo:[1,0,0] neg_hi:[1,0,0]
	v_pk_mul_f32 v[158:159], v[16:17], s[26:27]
	s_mov_b32 s51, s12
	v_mov_b32_e32 v42, v172
	v_pk_add_f32 v[38:39], v[40:41], v[38:39]
	v_mov_b32_e32 v32, v132
	v_pk_fma_f32 v[156:157], v[2:3], s[58:59], v[158:159]
	v_pk_fma_f32 v[34:35], v[2:3], s[58:59], v[158:159] neg_lo:[1,0,0] neg_hi:[1,0,0]
	v_pk_mul_f32 v[160:161], v[18:19], s[50:51]
	s_mov_b32 s54, s12
	s_mov_b32 s55, s50
	v_pk_add_f32 v[38:39], v[42:43], v[38:39]
	v_pk_mul_f32 v[48:49], v[186:187], s[22:23] op_sel_hi:[1,0]
	v_mov_b32_e32 v34, v156
	v_pk_fma_f32 v[162:163], v[4:5], s[54:55], v[160:161]
	v_pk_fma_f32 v[36:37], v[4:5], s[54:55], v[160:161] neg_lo:[1,0,0] neg_hi:[1,0,0]
	v_pk_mul_f32 v[178:179], v[20:21], s[38:39]
	v_pk_add_f32 v[32:33], v[32:33], v[38:39]
	v_pk_mul_f32 v[202:203], v[130:131], s[52:53]
	v_pk_fma_f32 v[216:217], v[184:185], s[10:11], v[48:49] op_sel:[0,0,1] op_sel_hi:[1,0,0]
	v_pk_fma_f32 v[218:219], v[184:185], s[10:11], v[48:49] op_sel:[0,0,1] op_sel_hi:[1,0,0] neg_lo:[0,0,1] neg_hi:[0,0,1]
	v_mov_b32_e32 v36, v162
	v_pk_fma_f32 v[176:177], v[6:7], s[64:65], v[178:179]
	v_pk_fma_f32 v[44:45], v[6:7], s[64:65], v[178:179] neg_lo:[1,0,0] neg_hi:[1,0,0]
	v_pk_add_f32 v[32:33], v[34:35], v[32:33]
	v_pk_fma_f32 v[200:201], v[8:9], s[20:21], v[202:203]
	v_pk_fma_f32 v[40:41], v[8:9], s[20:21], v[202:203] neg_lo:[1,0,0] neg_hi:[1,0,0]
	v_pk_mul_f32 v[206:207], v[126:127], s[38:39]
	v_mov_b32_e32 v48, v216
	v_mov_b32_e32 v49, v219
	;; [unrolled: 1-line block ×3, first 2 shown]
	v_pk_add_f32 v[32:33], v[36:37], v[32:33]
	v_mov_b32_e32 v40, v200
	v_pk_fma_f32 v[204:205], v[10:11], s[64:65], v[206:207]
	v_pk_fma_f32 v[42:43], v[10:11], s[64:65], v[206:207] neg_lo:[1,0,0] neg_hi:[1,0,0]
	v_pk_mul_f32 v[210:211], v[128:129], s[46:47]
	v_pk_add_f32 v[48:49], v[56:57], v[48:49]
	v_pk_add_f32 v[32:33], v[44:45], v[32:33]
	v_pk_mul_f32 v[190:191], v[14:15], s[28:29]
	s_mov_b32 s45, s8
	v_mov_b32_e32 v42, v204
	v_pk_fma_f32 v[208:209], v[12:13], s[56:57], v[210:211]
	v_pk_fma_f32 v[44:45], v[12:13], s[56:57], v[210:211] neg_lo:[1,0,0] neg_hi:[1,0,0]
	v_pk_add_f32 v[40:41], v[40:41], v[48:49]
	v_pk_fma_f32 v[188:189], v[0:1], s[18:19], v[190:191]
	v_pk_fma_f32 v[34:35], v[0:1], s[18:19], v[190:191] neg_lo:[1,0,0] neg_hi:[1,0,0]
	v_pk_mul_f32 v[192:193], v[16:17], s[44:45]
	v_mov_b32_e32 v44, v208
	v_pk_add_f32 v[40:41], v[42:43], v[40:41]
	v_mov_b32_e32 v34, v188
	v_pk_fma_f32 v[194:195], v[2:3], s[68:69], v[192:193]
	v_pk_fma_f32 v[36:37], v[2:3], s[68:69], v[192:193] neg_lo:[1,0,0] neg_hi:[1,0,0]
	v_pk_mul_f32 v[198:199], v[18:19], s[34:35]
	v_pk_add_f32 v[40:41], v[44:45], v[40:41]
	v_mov_b32_e32 v36, v194
	v_pk_fma_f32 v[196:197], v[4:5], s[60:61], v[198:199]
	v_pk_fma_f32 v[38:39], v[4:5], s[60:61], v[198:199] neg_lo:[1,0,0] neg_hi:[1,0,0]
	v_pk_mul_f32 v[214:215], v[20:21], s[24:25]
	v_pk_add_f32 v[34:35], v[34:35], v[40:41]
	v_mov_b32_e32 v38, v196
	v_pk_fma_f32 v[212:213], v[6:7], s[12:13], v[214:215]
	v_pk_fma_f32 v[46:47], v[6:7], s[12:13], v[214:215] neg_lo:[1,0,0] neg_hi:[1,0,0]
	v_pk_add_f32 v[34:35], v[36:37], v[34:35]
	v_mov_b32_e32 v46, v212
	v_pk_add_f32 v[34:35], v[38:39], v[34:35]
	v_pk_mul_f32 v[102:103], v[130:131], s[48:49]
	v_pk_add_f32 v[34:35], v[46:47], v[34:35]
	v_pk_mul_f32 v[46:47], v[186:187], s[24:25] op_sel_hi:[1,0]
	v_pk_fma_f32 v[98:99], v[8:9], s[10:11], v[102:103]
	v_pk_fma_f32 v[118:119], v[184:185], s[12:13], v[46:47] op_sel:[0,0,1] op_sel_hi:[1,0,0]
	v_pk_fma_f32 v[120:121], v[184:185], s[12:13], v[46:47] op_sel:[0,0,1] op_sel_hi:[1,0,0] neg_lo:[0,0,1] neg_hi:[0,0,1]
	v_pk_fma_f32 v[38:39], v[8:9], s[10:11], v[102:103] neg_lo:[1,0,0] neg_hi:[1,0,0]
	v_pk_mul_f32 v[108:109], v[126:127], s[34:35]
	v_mov_b32_e32 v46, v118
	v_mov_b32_e32 v47, v121
	;; [unrolled: 1-line block ×3, first 2 shown]
	v_pk_fma_f32 v[104:105], v[10:11], s[60:61], v[108:109]
	v_pk_fma_f32 v[40:41], v[10:11], s[60:61], v[108:109] neg_lo:[1,0,0] neg_hi:[1,0,0]
	v_pk_mul_f32 v[112:113], v[128:129], s[26:27]
	v_pk_add_f32 v[46:47], v[56:57], v[46:47]
	v_pk_mul_f32 v[88:89], v[14:15], s[44:45]
	v_mov_b32_e32 v40, v104
	v_pk_fma_f32 v[110:111], v[12:13], s[58:59], v[112:113]
	v_pk_fma_f32 v[42:43], v[12:13], s[58:59], v[112:113] neg_lo:[1,0,0] neg_hi:[1,0,0]
	v_pk_add_f32 v[38:39], v[38:39], v[46:47]
	ds_write2_b64 v220, v[32:33], v[34:35] offset0:68 offset1:85
	v_pk_fma_f32 v[86:87], v[0:1], s[68:69], v[88:89]
	v_pk_fma_f32 v[32:33], v[0:1], s[68:69], v[88:89] neg_lo:[1,0,0] neg_hi:[1,0,0]
	v_pk_mul_f32 v[92:93], v[16:17], s[42:43]
	v_mov_b32_e32 v42, v110
	v_pk_add_f32 v[38:39], v[40:41], v[38:39]
	v_mov_b32_e32 v32, v86
	v_pk_fma_f32 v[90:91], v[2:3], s[16:17], v[92:93]
	v_pk_fma_f32 v[34:35], v[2:3], s[16:17], v[92:93] neg_lo:[1,0,0] neg_hi:[1,0,0]
	v_pk_mul_f32 v[96:97], v[18:19], s[28:29]
	v_pk_add_f32 v[38:39], v[42:43], v[38:39]
	v_mov_b32_e32 v34, v90
	v_pk_fma_f32 v[94:95], v[4:5], s[18:19], v[96:97]
	v_pk_fma_f32 v[36:37], v[4:5], s[18:19], v[96:97] neg_lo:[1,0,0] neg_hi:[1,0,0]
	v_pk_mul_f32 v[116:117], v[20:21], s[30:31]
	v_pk_add_f32 v[32:33], v[32:33], v[38:39]
	v_mov_b32_e32 v36, v94
	v_pk_fma_f32 v[114:115], v[6:7], s[14:15], v[116:117]
	v_pk_fma_f32 v[44:45], v[6:7], s[14:15], v[116:117] neg_lo:[1,0,0] neg_hi:[1,0,0]
	v_pk_add_f32 v[32:33], v[34:35], v[32:33]
	v_mov_b32_e32 v44, v114
	v_pk_add_f32 v[32:33], v[36:37], v[32:33]
	v_pk_mul_f32 v[42:43], v[186:187], s[26:27] op_sel_hi:[1,0]
	v_pk_add_f32 v[32:33], v[44:45], v[32:33]
	v_pk_mul_f32 v[138:139], v[130:131], s[30:31]
	v_pk_fma_f32 v[44:45], v[184:185], s[20:21], v[42:43] op_sel:[0,0,1] op_sel_hi:[1,0,0]
	v_pk_fma_f32 v[42:43], v[184:185], s[20:21], v[42:43] op_sel:[0,0,1] op_sel_hi:[1,0,0] neg_lo:[0,0,1] neg_hi:[0,0,1]
	v_pk_fma_f32 v[136:137], v[8:9], s[14:15], v[138:139]
	v_pk_fma_f32 v[38:39], v[8:9], s[14:15], v[138:139] neg_lo:[1,0,0] neg_hi:[1,0,0]
	v_pk_mul_f32 v[142:143], v[126:127], s[36:37]
	v_mov_b32_e32 v46, v44
	v_mov_b32_e32 v47, v43
	;; [unrolled: 1-line block ×3, first 2 shown]
	v_pk_fma_f32 v[140:141], v[10:11], s[8:9], v[142:143]
	v_pk_fma_f32 v[40:41], v[10:11], s[8:9], v[142:143] neg_lo:[1,0,0] neg_hi:[1,0,0]
	v_pk_add_f32 v[46:47], v[56:57], v[46:47]
	v_mov_b32_e32 v40, v140
	v_pk_mul_f32 v[144:145], v[128:129], s[50:51]
	v_pk_add_f32 v[38:39], v[38:39], v[46:47]
	v_pk_mul_f32 v[100:101], v[14:15], s[34:35]
	v_pk_fma_f32 v[46:47], v[12:13], s[54:55], v[144:145]
	v_pk_add_f32 v[38:39], v[40:41], v[38:39]
	v_pk_fma_f32 v[40:41], v[12:13], s[54:55], v[144:145] neg_lo:[1,0,0] neg_hi:[1,0,0]
	v_pk_fma_f32 v[72:73], v[0:1], s[60:61], v[100:101]
	v_pk_fma_f32 v[34:35], v[0:1], s[60:61], v[100:101] neg_lo:[1,0,0] neg_hi:[1,0,0]
	v_pk_mul_f32 v[122:123], v[16:17], s[28:29]
	v_mov_b32_e32 v40, v46
	v_mov_b32_e32 v34, v72
	v_pk_fma_f32 v[106:107], v[2:3], s[18:19], v[122:123]
	v_pk_fma_f32 v[36:37], v[2:3], s[18:19], v[122:123] neg_lo:[1,0,0] neg_hi:[1,0,0]
	v_pk_mul_f32 v[134:135], v[18:19], s[38:39]
	v_pk_add_f32 v[38:39], v[40:41], v[38:39]
	v_mov_b32_e32 v36, v106
	v_pk_fma_f32 v[40:41], v[4:5], s[64:65], v[134:135]
	v_pk_add_f32 v[34:35], v[34:35], v[38:39]
	v_pk_fma_f32 v[38:39], v[4:5], s[64:65], v[134:135] neg_lo:[1,0,0] neg_hi:[1,0,0]
	v_pk_add_f32 v[34:35], v[36:37], v[34:35]
	v_mov_b32_e32 v38, v40
	v_pk_mul_f32 v[36:37], v[20:21], s[22:23]
	v_pk_add_f32 v[34:35], v[38:39], v[34:35]
	v_pk_fma_f32 v[38:39], v[6:7], s[62:63], v[36:37]
	v_pk_fma_f32 v[48:49], v[6:7], s[62:63], v[36:37] neg_lo:[1,0,0] neg_hi:[1,0,0]
	v_pk_mul_f32 v[14:15], v[14:15], s[24:25]
	v_mov_b32_e32 v48, v38
	v_pk_add_f32 v[34:35], v[48:49], v[34:35]
	v_pk_mul_f32 v[48:49], v[186:187], s[28:29] op_sel_hi:[1,0]
	ds_write2_b64 v220, v[32:33], v[34:35] offset0:102 offset1:119
	v_pk_mul_f32 v[32:33], v[130:131], s[40:41]
	v_pk_fma_f32 v[50:51], v[184:185], s[18:19], v[48:49] op_sel:[0,0,1] op_sel_hi:[1,0,0]
	v_pk_fma_f32 v[48:49], v[184:185], s[18:19], v[48:49] op_sel:[0,0,1] op_sel_hi:[1,0,0] neg_lo:[0,0,1] neg_hi:[0,0,1]
	v_pk_fma_f32 v[34:35], v[8:9], s[0:1], v[32:33]
	v_pk_fma_f32 v[52:53], v[8:9], s[0:1], v[32:33] neg_lo:[1,0,0] neg_hi:[1,0,0]
	v_mov_b32_e32 v54, v50
	v_mov_b32_e32 v55, v49
	;; [unrolled: 1-line block ×3, first 2 shown]
	v_pk_add_f32 v[54:55], v[56:57], v[54:55]
	v_pk_fma_f32 v[148:149], v[0:1], s[12:13], v[14:15] neg_lo:[1,0,0] neg_hi:[1,0,0]
	v_pk_add_f32 v[52:53], v[52:53], v[54:55]
	v_pk_mul_f32 v[54:55], v[126:127], s[26:27]
	v_pk_fma_f32 v[32:33], v[8:9], s[0:1], v[32:33] neg_lo:[0,0,1] neg_hi:[0,0,1]
	v_pk_fma_f32 v[70:71], v[10:11], s[58:59], v[54:55]
	v_pk_fma_f32 v[126:127], v[10:11], s[58:59], v[54:55] neg_lo:[1,0,0] neg_hi:[1,0,0]
	v_mov_b32_e32 v49, v51
	v_mov_b32_e32 v126, v70
	v_pk_add_f32 v[52:53], v[126:127], v[52:53]
	v_pk_mul_f32 v[126:127], v[128:129], s[38:39]
	v_pk_mul_f32 v[16:17], v[16:17], s[30:31]
	v_pk_fma_f32 v[128:129], v[12:13], s[64:65], v[126:127]
	v_pk_fma_f32 v[130:131], v[12:13], s[64:65], v[126:127] neg_lo:[1,0,0] neg_hi:[1,0,0]
	v_mov_b32_e32 v33, v35
	v_mov_b32_e32 v130, v128
	v_pk_add_f32 v[52:53], v[130:131], v[52:53]
	v_pk_fma_f32 v[130:131], v[0:1], s[12:13], v[14:15]
	v_pk_fma_f32 v[34:35], v[10:11], s[58:59], v[54:55] neg_lo:[0,0,1] neg_hi:[0,0,1]
	v_mov_b32_e32 v148, v130
	v_pk_add_f32 v[48:49], v[56:57], v[48:49]
	v_pk_add_f32 v[52:53], v[148:149], v[52:53]
	v_pk_fma_f32 v[148:149], v[2:3], s[14:15], v[16:17]
	v_pk_fma_f32 v[150:151], v[2:3], s[14:15], v[16:17] neg_lo:[1,0,0] neg_hi:[1,0,0]
	v_mov_b32_e32 v35, v71
	v_pk_fma_f32 v[54:55], v[12:13], s[64:65], v[126:127] neg_lo:[0,0,1] neg_hi:[0,0,1]
	v_pk_add_f32 v[32:33], v[32:33], v[48:49]
	v_mov_b32_e32 v150, v148
	v_pk_mul_f32 v[18:19], v[18:19], s[22:23]
	v_pk_fma_f32 v[14:15], v[0:1], s[12:13], v[14:15] neg_lo:[0,0,1] neg_hi:[0,0,1]
	v_mov_b32_e32 v55, v129
	v_pk_add_f32 v[32:33], v[34:35], v[32:33]
	v_pk_add_f32 v[52:53], v[150:151], v[52:53]
	v_pk_fma_f32 v[150:151], v[4:5], s[62:63], v[18:19]
	v_pk_fma_f32 v[152:153], v[4:5], s[62:63], v[18:19] neg_lo:[1,0,0] neg_hi:[1,0,0]
	v_mov_b32_e32 v15, v131
	v_pk_fma_f32 v[16:17], v[2:3], s[14:15], v[16:17] neg_lo:[0,0,1] neg_hi:[0,0,1]
	v_pk_add_f32 v[32:33], v[54:55], v[32:33]
	v_mov_b32_e32 v152, v150
	v_pk_mul_f32 v[20:21], v[20:21], s[44:45]
	v_mov_b32_e32 v17, v149
	v_pk_fma_f32 v[18:19], v[4:5], s[62:63], v[18:19] neg_lo:[0,0,1] neg_hi:[0,0,1]
	v_pk_add_f32 v[14:15], v[14:15], v[32:33]
	v_pk_add_f32 v[52:53], v[152:153], v[52:53]
	v_pk_fma_f32 v[152:153], v[6:7], s[68:69], v[20:21]
	v_pk_fma_f32 v[184:185], v[6:7], s[68:69], v[20:21] neg_lo:[1,0,0] neg_hi:[1,0,0]
	v_mov_b32_e32 v19, v151
	v_pk_fma_f32 v[20:21], v[6:7], s[68:69], v[20:21] neg_lo:[0,0,1] neg_hi:[0,0,1]
	v_pk_add_f32 v[14:15], v[16:17], v[14:15]
	v_mov_b32_e32 v21, v153
	v_pk_add_f32 v[14:15], v[18:19], v[14:15]
	v_pk_fma_f32 v[36:37], v[6:7], s[62:63], v[36:37] neg_lo:[0,0,1] neg_hi:[0,0,1]
	v_pk_add_f32 v[14:15], v[20:21], v[14:15]
	v_pk_fma_f32 v[20:21], v[8:9], s[14:15], v[138:139] neg_lo:[0,0,1] neg_hi:[0,0,1]
	v_mov_b32_e32 v43, v45
	v_mov_b32_e32 v184, v152
	;; [unrolled: 1-line block ×3, first 2 shown]
	v_pk_fma_f32 v[32:33], v[10:11], s[8:9], v[142:143] neg_lo:[0,0,1] neg_hi:[0,0,1]
	v_mov_b32_e32 v37, v39
	v_pk_add_f32 v[38:39], v[56:57], v[42:43]
	v_pk_add_f32 v[52:53], v[184:185], v[52:53]
	v_mov_b32_e32 v33, v141
	v_pk_fma_f32 v[34:35], v[12:13], s[54:55], v[144:145] neg_lo:[0,0,1] neg_hi:[0,0,1]
	v_pk_add_f32 v[20:21], v[20:21], v[38:39]
	ds_write2_b64 v220, v[52:53], v[14:15] offset0:136 offset1:153
	v_pk_fma_f32 v[14:15], v[0:1], s[60:61], v[100:101] neg_lo:[0,0,1] neg_hi:[0,0,1]
	v_mov_b32_e32 v35, v47
	v_pk_add_f32 v[20:21], v[32:33], v[20:21]
	v_mov_b32_e32 v15, v73
	v_pk_fma_f32 v[16:17], v[2:3], s[18:19], v[122:123] neg_lo:[0,0,1] neg_hi:[0,0,1]
	v_pk_add_f32 v[20:21], v[34:35], v[20:21]
	v_mov_b32_e32 v17, v107
	v_pk_fma_f32 v[18:19], v[4:5], s[64:65], v[134:135] neg_lo:[0,0,1] neg_hi:[0,0,1]
	v_pk_add_f32 v[14:15], v[14:15], v[20:21]
	v_mov_b32_e32 v19, v41
	v_pk_add_f32 v[14:15], v[16:17], v[14:15]
	v_pk_fma_f32 v[32:33], v[8:9], s[10:11], v[102:103] neg_lo:[0,0,1] neg_hi:[0,0,1]
	v_mov_b32_e32 v121, v119
	v_pk_add_f32 v[14:15], v[18:19], v[14:15]
	v_mov_b32_e32 v33, v99
	v_pk_fma_f32 v[34:35], v[10:11], s[60:61], v[108:109] neg_lo:[0,0,1] neg_hi:[0,0,1]
	v_pk_add_f32 v[40:41], v[56:57], v[120:121]
	v_pk_add_f32 v[14:15], v[36:37], v[14:15]
	v_mov_b32_e32 v35, v105
	v_pk_fma_f32 v[36:37], v[12:13], s[58:59], v[112:113] neg_lo:[0,0,1] neg_hi:[0,0,1]
	v_pk_add_f32 v[32:33], v[32:33], v[40:41]
	v_pk_fma_f32 v[16:17], v[0:1], s[68:69], v[88:89] neg_lo:[0,0,1] neg_hi:[0,0,1]
	v_mov_b32_e32 v37, v111
	v_pk_add_f32 v[32:33], v[34:35], v[32:33]
	v_mov_b32_e32 v17, v87
	v_pk_fma_f32 v[18:19], v[2:3], s[16:17], v[92:93] neg_lo:[0,0,1] neg_hi:[0,0,1]
	v_pk_add_f32 v[32:33], v[36:37], v[32:33]
	v_mov_b32_e32 v19, v91
	v_pk_fma_f32 v[20:21], v[4:5], s[18:19], v[96:97] neg_lo:[0,0,1] neg_hi:[0,0,1]
	;; [unrolled: 3-line block ×3, first 2 shown]
	v_pk_add_f32 v[16:17], v[18:19], v[16:17]
	v_mov_b32_e32 v39, v115
	v_pk_add_f32 v[16:17], v[20:21], v[16:17]
	v_pk_fma_f32 v[20:21], v[8:9], s[20:21], v[202:203] neg_lo:[0,0,1] neg_hi:[0,0,1]
	v_mov_b32_e32 v219, v217
	v_pk_add_f32 v[16:17], v[38:39], v[16:17]
	v_mov_b32_e32 v21, v201
	v_pk_fma_f32 v[32:33], v[10:11], s[64:65], v[206:207] neg_lo:[0,0,1] neg_hi:[0,0,1]
	v_pk_add_f32 v[38:39], v[56:57], v[218:219]
	v_mov_b32_e32 v33, v205
	v_pk_fma_f32 v[34:35], v[12:13], s[56:57], v[210:211] neg_lo:[0,0,1] neg_hi:[0,0,1]
	v_pk_add_f32 v[20:21], v[20:21], v[38:39]
	ds_write2_b64 v220, v[14:15], v[16:17] offset0:170 offset1:187
	v_pk_fma_f32 v[14:15], v[0:1], s[18:19], v[190:191] neg_lo:[0,0,1] neg_hi:[0,0,1]
	v_mov_b32_e32 v35, v209
	v_pk_add_f32 v[20:21], v[32:33], v[20:21]
	v_mov_b32_e32 v15, v189
	v_pk_fma_f32 v[16:17], v[2:3], s[68:69], v[192:193] neg_lo:[0,0,1] neg_hi:[0,0,1]
	v_pk_add_f32 v[20:21], v[34:35], v[20:21]
	v_mov_b32_e32 v17, v195
	v_pk_fma_f32 v[18:19], v[4:5], s[60:61], v[198:199] neg_lo:[0,0,1] neg_hi:[0,0,1]
	;; [unrolled: 3-line block ×3, first 2 shown]
	v_pk_add_f32 v[14:15], v[16:17], v[14:15]
	v_pk_fma_f32 v[32:33], v[8:9], s[18:19], v[166:167] neg_lo:[0,0,1] neg_hi:[0,0,1]
	v_mov_b32_e32 v183, v181
	v_mov_b32_e32 v37, v213
	v_pk_add_f32 v[14:15], v[18:19], v[14:15]
	v_mov_b32_e32 v33, v165
	v_pk_fma_f32 v[34:35], v[10:11], s[10:11], v[170:171] neg_lo:[0,0,1] neg_hi:[0,0,1]
	v_pk_add_f32 v[40:41], v[56:57], v[182:183]
	v_pk_add_f32 v[14:15], v[36:37], v[14:15]
	v_mov_b32_e32 v35, v169
	v_pk_fma_f32 v[36:37], v[12:13], s[0:1], v[174:175] neg_lo:[0,0,1] neg_hi:[0,0,1]
	v_pk_add_f32 v[32:33], v[32:33], v[40:41]
	v_pk_fma_f32 v[16:17], v[0:1], s[56:57], v[154:155] neg_lo:[0,0,1] neg_hi:[0,0,1]
	v_mov_b32_e32 v37, v173
	v_pk_add_f32 v[32:33], v[34:35], v[32:33]
	v_mov_b32_e32 v17, v133
	v_pk_fma_f32 v[18:19], v[2:3], s[58:59], v[158:159] neg_lo:[0,0,1] neg_hi:[0,0,1]
	v_pk_add_f32 v[32:33], v[36:37], v[32:33]
	v_mov_b32_e32 v19, v157
	v_pk_fma_f32 v[20:21], v[4:5], s[54:55], v[160:161] neg_lo:[0,0,1] neg_hi:[0,0,1]
	;; [unrolled: 3-line block ×3, first 2 shown]
	v_pk_add_f32 v[16:17], v[18:19], v[16:17]
	v_mov_b32_e32 v39, v177
	v_pk_add_f32 v[16:17], v[20:21], v[16:17]
	v_pk_fma_f32 v[8:9], v[8:9], s[12:13], v[66:67] neg_lo:[0,0,1] neg_hi:[0,0,1]
	v_pk_add_f32 v[16:17], v[38:39], v[16:17]
	v_mov_b32_e32 v125, v83
	ds_write2_b64 v220, v[14:15], v[16:17] offset0:204 offset1:221
	v_mov_b32_e32 v9, v65
	v_pk_fma_f32 v[10:11], v[10:11], s[66:67], v[68:69] neg_lo:[0,0,1] neg_hi:[0,0,1]
	v_pk_add_f32 v[14:15], v[56:57], v[124:125]
	v_mov_b32_e32 v11, v147
	v_pk_fma_f32 v[12:13], v[12:13], s[10:11], v[76:77] neg_lo:[0,0,1] neg_hi:[0,0,1]
	v_pk_add_f32 v[8:9], v[8:9], v[14:15]
	v_pk_fma_f32 v[0:1], v[0:1], s[64:65], v[22:23] neg_lo:[0,0,1] neg_hi:[0,0,1]
	v_mov_b32_e32 v13, v75
	v_pk_add_f32 v[8:9], v[10:11], v[8:9]
	v_mov_b32_e32 v1, v25
	v_pk_fma_f32 v[2:3], v[2:3], s[60:61], v[58:59] neg_lo:[0,0,1] neg_hi:[0,0,1]
	v_pk_add_f32 v[8:9], v[12:13], v[8:9]
	v_mov_b32_e32 v3, v27
	v_pk_fma_f32 v[4:5], v[4:5], s[8:9], v[62:63] neg_lo:[0,0,1] neg_hi:[0,0,1]
	;; [unrolled: 3-line block ×3, first 2 shown]
	v_pk_add_f32 v[0:1], v[2:3], v[0:1]
	v_mov_b32_e32 v7, v79
	v_pk_add_f32 v[0:1], v[4:5], v[0:1]
	v_accvgpr_read_b32 v55, a49
	v_pk_add_f32 v[0:1], v[6:7], v[0:1]
	ds_write2_b64 v220, v[0:1], v[28:29] offset0:238 offset1:255
	ds_write_b64 v220, v[30:31] offset:2176
	v_add_u32_e32 v0, 0x400, v84
	s_waitcnt lgkmcnt(0)
	; wave barrier
	s_waitcnt lgkmcnt(0)
	ds_read2_b64 v[20:23], v84 offset1:51
	ds_read2_b64 v[0:3], v0 offset0:76 offset1:161
	ds_read2_b64 v[24:27], v85 offset0:66 offset1:117
	;; [unrolled: 1-line block ×6, first 2 shown]
	ds_read_b64 v[56:57], v84 offset:6256
	v_accvgpr_read_b32 v222, a98
	v_accvgpr_read_b32 v224, a100
	v_accvgpr_read_b32 v223, a98
	v_accvgpr_read_b32 v130, a108
	v_accvgpr_read_b32 v131, a108
	v_accvgpr_read_b32 v225, a100
	v_accvgpr_read_b32 v70, a106
	v_accvgpr_read_b32 v71, a106
	v_accvgpr_read_b32 v184, a94
	v_accvgpr_read_b32 v186, a96
	v_accvgpr_read_b32 v185, a94
	v_accvgpr_read_b32 v236, a124
	v_accvgpr_read_b32 v237, a124
	v_accvgpr_read_b32 v187, a96
	v_accvgpr_read_b32 v226, a110
	v_accvgpr_read_b32 v227, a110
	v_accvgpr_read_b32 v148, a90
	v_accvgpr_read_b32 v150, a92
	v_accvgpr_read_b32 v149, a90
	v_accvgpr_read_b32 v234, a122
	v_accvgpr_read_b32 v235, a122
	v_accvgpr_read_b32 v151, a92
	v_accvgpr_read_b32 v228, a112
	v_accvgpr_read_b32 v229, a112
	v_accvgpr_read_b32 v126, a86
	v_accvgpr_read_b32 v128, a88
	v_accvgpr_read_b32 v127, a86
	v_accvgpr_read_b32 v232, a120
	v_accvgpr_read_b32 v233, a120
	v_accvgpr_read_b32 v129, a88
	v_accvgpr_read_b32 v230, a114
	v_accvgpr_read_b32 v231, a114
	v_accvgpr_read_b32 v58, a78
	v_accvgpr_read_b32 v60, a80
	v_accvgpr_read_b32 v59, a78
	v_accvgpr_read_b32 v48, a118
	v_accvgpr_read_b32 v49, a118
	v_accvgpr_read_b32 v61, a80
	v_accvgpr_read_b32 v50, a116
	v_accvgpr_read_b32 v51, a116
	s_and_saveexec_b64 s[0:1], vcc
	s_cbranch_execz .LBB0_7
; %bb.6:
	ds_read_b64 v[28:29], v84 offset:2040
	ds_read_b64 v[30:31], v84 offset:4352
	ds_read_b64 a[104:105], v84 offset:6664
.LBB0_7:
	s_or_b64 exec, exec, s[0:1]
	s_waitcnt lgkmcnt(6)
	v_pk_mul_f32 v[32:33], v[130:131], v[2:3]
	s_waitcnt lgkmcnt(5)
	v_pk_mul_f32 v[34:35], v[70:71], v[24:25]
	v_pk_fma_f32 v[52:53], v[222:223], v[2:3], v[32:33] op_sel:[0,0,1] op_sel_hi:[1,1,0]
	v_pk_fma_f32 v[2:3], v[222:223], v[2:3], v[32:33] op_sel:[0,0,1] op_sel_hi:[1,1,0] neg_lo:[0,0,1] neg_hi:[0,0,1]
	s_mov_b32 s0, 0x3f5db3d7
	v_mov_b32_e32 v53, v3
	v_pk_fma_f32 v[2:3], v[224:225], v[24:25], v[34:35] op_sel:[0,0,1] op_sel_hi:[1,1,0]
	v_pk_fma_f32 v[24:25], v[224:225], v[24:25], v[34:35] op_sel:[0,0,1] op_sel_hi:[1,1,0] neg_lo:[0,0,1] neg_hi:[0,0,1]
	s_waitcnt lgkmcnt(4)
	v_pk_mul_f32 v[36:37], v[236:237], v[16:17]
	v_mov_b32_e32 v3, v25
	v_pk_add_f32 v[24:25], v[20:21], v[52:53]
	v_pk_add_f32 v[32:33], v[52:53], v[2:3]
	;; [unrolled: 1-line block ×3, first 2 shown]
	v_pk_add_f32 v[2:3], v[52:53], v[2:3] neg_lo:[0,1] neg_hi:[0,1]
	v_pk_fma_f32 v[20:21], v[32:33], 0.5, v[20:21] op_sel_hi:[1,0,1] neg_lo:[1,0,0] neg_hi:[1,0,0]
	v_pk_mul_f32 v[2:3], v[2:3], s[0:1] op_sel_hi:[1,0]
	v_pk_mul_f32 v[38:39], v[226:227], v[26:27]
	v_pk_add_f32 v[32:33], v[20:21], v[2:3] op_sel:[0,1] op_sel_hi:[1,0] neg_lo:[0,1] neg_hi:[0,1]
	v_pk_add_f32 v[2:3], v[20:21], v[2:3] op_sel:[0,1] op_sel_hi:[1,0]
	v_mov_b32_e32 v20, v32
	v_mov_b32_e32 v21, v3
	;; [unrolled: 1-line block ×3, first 2 shown]
	ds_write_b64 v84, v[2:3] offset:4624
	v_pk_fma_f32 v[2:3], v[184:185], v[16:17], v[36:37] op_sel:[0,0,1] op_sel_hi:[1,1,0]
	v_pk_fma_f32 v[16:17], v[184:185], v[16:17], v[36:37] op_sel:[0,0,1] op_sel_hi:[1,1,0] neg_lo:[0,0,1] neg_hi:[0,0,1]
	ds_write_b64 v84, v[20:21] offset:2312
	v_mov_b32_e32 v3, v17
	v_pk_fma_f32 v[16:17], v[186:187], v[26:27], v[38:39] op_sel:[0,0,1] op_sel_hi:[1,1,0]
	v_pk_fma_f32 v[20:21], v[186:187], v[26:27], v[38:39] op_sel:[0,0,1] op_sel_hi:[1,1,0] neg_lo:[0,0,1] neg_hi:[0,0,1]
	v_pk_mul_f32 v[40:41], v[234:235], v[18:19]
	v_mov_b32_e32 v17, v21
	v_pk_add_f32 v[20:21], v[22:23], v[2:3]
	s_waitcnt lgkmcnt(4)
	v_pk_mul_f32 v[42:43], v[228:229], v[12:13]
	v_pk_add_f32 v[20:21], v[20:21], v[16:17]
	ds_write2_b64 v84, v[24:25], v[20:21] offset1:51
	v_pk_add_f32 v[20:21], v[2:3], v[16:17]
	v_pk_add_f32 v[2:3], v[2:3], v[16:17] neg_lo:[0,1] neg_hi:[0,1]
	v_pk_fma_f32 v[20:21], v[20:21], 0.5, v[22:23] op_sel_hi:[1,0,1] neg_lo:[1,0,0] neg_hi:[1,0,0]
	v_pk_mul_f32 v[2:3], v[2:3], s[0:1] op_sel_hi:[1,0]
	s_waitcnt lgkmcnt(4)
	v_pk_mul_f32 v[44:45], v[232:233], v[4:5]
	v_pk_add_f32 v[16:17], v[20:21], v[2:3] op_sel:[0,1] op_sel_hi:[1,0] neg_lo:[0,1] neg_hi:[0,1]
	v_pk_add_f32 v[2:3], v[20:21], v[2:3] op_sel:[0,1] op_sel_hi:[1,0]
	v_mov_b32_e32 v20, v16
	v_mov_b32_e32 v21, v3
	;; [unrolled: 1-line block ×3, first 2 shown]
	v_pk_fma_f32 v[16:17], v[148:149], v[18:19], v[40:41] op_sel:[0,0,1] op_sel_hi:[1,1,0]
	v_pk_fma_f32 v[18:19], v[148:149], v[18:19], v[40:41] op_sel:[0,0,1] op_sel_hi:[1,1,0] neg_lo:[0,0,1] neg_hi:[0,0,1]
	v_pk_mul_f32 v[46:47], v[230:231], v[14:15]
	v_mov_b32_e32 v17, v19
	v_pk_fma_f32 v[18:19], v[150:151], v[12:13], v[42:43] op_sel:[0,0,1] op_sel_hi:[1,1,0]
	v_pk_fma_f32 v[12:13], v[150:151], v[12:13], v[42:43] op_sel:[0,0,1] op_sel_hi:[1,1,0] neg_lo:[0,0,1] neg_hi:[0,0,1]
	v_pk_mul_f32 v[48:49], v[48:49], v[6:7]
	v_mov_b32_e32 v19, v13
	v_pk_add_f32 v[12:13], v[8:9], v[16:17]
	v_pk_add_f32 v[22:23], v[16:17], v[18:19]
	v_pk_add_f32 v[16:17], v[16:17], v[18:19] neg_lo:[0,1] neg_hi:[0,1]
	v_pk_fma_f32 v[8:9], v[22:23], 0.5, v[8:9] op_sel_hi:[1,0,1] neg_lo:[1,0,0] neg_hi:[1,0,0]
	v_pk_mul_f32 v[16:17], v[16:17], s[0:1] op_sel_hi:[1,0]
	v_pk_add_f32 v[12:13], v[12:13], v[18:19]
	v_pk_add_f32 v[18:19], v[8:9], v[16:17] op_sel:[0,1] op_sel_hi:[1,0] neg_lo:[0,1] neg_hi:[0,1]
	v_pk_add_f32 v[8:9], v[8:9], v[16:17] op_sel:[0,1] op_sel_hi:[1,0]
	v_mov_b32_e32 v16, v18
	v_mov_b32_e32 v17, v9
	;; [unrolled: 1-line block ×3, first 2 shown]
	ds_write2_b64 v85, v[2:3], v[8:9] offset0:117 offset1:168
	v_pk_fma_f32 v[2:3], v[126:127], v[4:5], v[44:45] op_sel:[0,0,1] op_sel_hi:[1,1,0]
	v_pk_fma_f32 v[4:5], v[126:127], v[4:5], v[44:45] op_sel:[0,0,1] op_sel_hi:[1,1,0] neg_lo:[0,0,1] neg_hi:[0,0,1]
	v_pk_fma_f32 v[8:9], v[128:129], v[14:15], v[46:47] op_sel:[0,0,1] op_sel_hi:[1,1,0] neg_lo:[0,0,1] neg_hi:[0,0,1]
	v_mov_b32_e32 v3, v5
	v_pk_fma_f32 v[4:5], v[128:129], v[14:15], v[46:47] op_sel:[0,0,1] op_sel_hi:[1,1,0]
	ds_write2_b64 v55, v[20:21], v[16:17] offset0:84 offset1:135
	v_mov_b32_e32 v5, v9
	v_pk_add_f32 v[8:9], v[10:11], v[2:3]
	s_waitcnt lgkmcnt(5)
	v_pk_mul_f32 v[50:51], v[50:51], v[56:57]
	v_pk_add_f32 v[8:9], v[8:9], v[4:5]
	ds_write2_b64 v84, v[12:13], v[8:9] offset0:102 offset1:153
	v_pk_add_f32 v[8:9], v[2:3], v[4:5]
	v_pk_add_f32 v[2:3], v[2:3], v[4:5] neg_lo:[0,1] neg_hi:[0,1]
	v_pk_fma_f32 v[8:9], v[8:9], 0.5, v[10:11] op_sel_hi:[1,0,1] neg_lo:[1,0,0] neg_hi:[1,0,0]
	v_pk_mul_f32 v[2:3], v[2:3], s[0:1] op_sel_hi:[1,0]
	s_nop 0
	v_pk_add_f32 v[4:5], v[8:9], v[2:3] op_sel:[0,1] op_sel_hi:[1,0] neg_lo:[0,1] neg_hi:[0,1]
	v_pk_add_f32 v[2:3], v[8:9], v[2:3] op_sel:[0,1] op_sel_hi:[1,0]
	v_mov_b32_e32 v8, v4
	v_mov_b32_e32 v9, v3
	v_mov_b32_e32 v3, v5
	ds_write_b64 v84, v[2:3] offset:5848
	v_pk_fma_f32 v[2:3], v[58:59], v[6:7], v[48:49] op_sel:[0,0,1] op_sel_hi:[1,1,0]
	v_pk_fma_f32 v[4:5], v[58:59], v[6:7], v[48:49] op_sel:[0,0,1] op_sel_hi:[1,1,0] neg_lo:[0,0,1] neg_hi:[0,0,1]
	v_pk_fma_f32 v[6:7], v[60:61], v[56:57], v[50:51] op_sel:[0,0,1] op_sel_hi:[1,1,0] neg_lo:[0,0,1] neg_hi:[0,0,1]
	v_mov_b32_e32 v3, v5
	v_pk_fma_f32 v[4:5], v[60:61], v[56:57], v[50:51] op_sel:[0,0,1] op_sel_hi:[1,1,0]
	s_nop 0
	v_mov_b32_e32 v5, v7
	v_pk_add_f32 v[6:7], v[0:1], v[2:3]
	s_nop 0
	v_pk_add_f32 v[6:7], v[6:7], v[4:5]
	ds_write_b64 v84, v[6:7] offset:1632
	v_pk_add_f32 v[6:7], v[2:3], v[4:5]
	v_pk_add_f32 v[2:3], v[2:3], v[4:5] neg_lo:[0,1] neg_hi:[0,1]
	v_pk_fma_f32 v[0:1], v[6:7], 0.5, v[0:1] op_sel_hi:[1,0,1] neg_lo:[1,0,0] neg_hi:[1,0,0]
	v_pk_mul_f32 v[2:3], v[2:3], s[0:1] op_sel_hi:[1,0]
	s_nop 0
	v_pk_add_f32 v[4:5], v[0:1], v[2:3] op_sel:[0,1] op_sel_hi:[1,0] neg_lo:[0,1] neg_hi:[0,1]
	v_pk_add_f32 v[0:1], v[0:1], v[2:3] op_sel:[0,1] op_sel_hi:[1,0]
	v_mov_b32_e32 v2, v4
	v_mov_b32_e32 v3, v1
	v_mov_b32_e32 v1, v5
	ds_write2_b64 v55, v[8:9], v[2:3] offset0:186 offset1:237
	ds_write_b64 v84, v[0:1] offset:6256
	s_and_saveexec_b64 s[8:9], vcc
	s_cbranch_execz .LBB0_9
; %bb.8:
	v_accvgpr_read_b32 v6, a70
	v_accvgpr_read_b32 v10, a104
	;; [unrolled: 1-line block ×6, first 2 shown]
	v_pk_mul_f32 v[0:1], v[6:7], v[30:31] op_sel:[0,1]
	v_mov_b32_e32 v2, v11
	v_pk_mul_f32 v[2:3], v[8:9], v[2:3] op_sel_hi:[1,0]
	v_pk_fma_f32 v[4:5], v[6:7], v[30:31], v[0:1] op_sel:[0,0,1] op_sel_hi:[1,1,0]
	v_pk_fma_f32 v[0:1], v[6:7], v[30:31], v[0:1] op_sel:[0,0,1] op_sel_hi:[1,0,0] neg_lo:[1,0,0] neg_hi:[1,0,0]
	s_nop 0
	v_mov_b32_e32 v5, v1
	v_pk_fma_f32 v[0:1], v[8:9], v[10:11], v[2:3] op_sel:[0,0,1] op_sel_hi:[1,1,0]
	v_pk_fma_f32 v[2:3], v[8:9], v[10:11], v[2:3] op_sel:[0,0,1] op_sel_hi:[1,0,0] neg_lo:[1,0,0] neg_hi:[1,0,0]
	s_nop 0
	v_mov_b32_e32 v1, v3
	v_pk_add_f32 v[2:3], v[28:29], v[4:5]
	s_nop 0
	v_pk_add_f32 v[2:3], v[2:3], v[0:1]
	ds_write_b64 v84, v[2:3] offset:2040
	v_pk_add_f32 v[2:3], v[4:5], v[0:1]
	v_pk_add_f32 v[0:1], v[4:5], v[0:1] neg_lo:[0,1] neg_hi:[0,1]
	v_pk_fma_f32 v[2:3], -0.5, v[2:3], v[28:29] op_sel_hi:[0,1,1]
	v_pk_mul_f32 v[0:1], v[0:1], s[0:1] op_sel_hi:[1,0]
	s_nop 0
	v_pk_add_f32 v[4:5], v[2:3], v[0:1] op_sel:[0,1] op_sel_hi:[1,0] neg_lo:[0,1] neg_hi:[0,1]
	v_pk_add_f32 v[0:1], v[2:3], v[0:1] op_sel:[0,1] op_sel_hi:[1,0]
	v_mov_b32_e32 v2, v4
	v_mov_b32_e32 v3, v1
	;; [unrolled: 1-line block ×3, first 2 shown]
	ds_write_b64 v84, v[2:3] offset:4352
	ds_write_b64 v84, v[0:1] offset:6664
.LBB0_9:
	s_or_b64 exec, exec, s[8:9]
	v_accvgpr_read_b32 v10, a18
	s_waitcnt lgkmcnt(0)
	; wave barrier
	s_waitcnt lgkmcnt(0)
	ds_read2_b64 v[0:3], v84 offset1:51
	v_mad_u64_u32 v[6:7], s[0:1], s6, v10, 0
	v_mov_b32_e32 v8, v7
	v_mad_u64_u32 v[8:9], s[0:1], s7, v10, v[8:9]
	v_accvgpr_read_b32 v10, a34
	v_accvgpr_read_b32 v11, a35
	v_mov_b32_e32 v7, v8
	s_waitcnt lgkmcnt(0)
	v_mul_f32_e32 v8, v11, v1
	v_fmac_f32_e32 v8, v10, v0
	v_mul_f32_e32 v0, v11, v0
	s_mov_b32 s0, 0x8b5e3104
	v_fma_f32 v0, v10, v1, -v0
	v_cvt_f64_f32_e32 v[8:9], v8
	s_mov_b32 s1, 0x3f52e5b8
	v_cvt_f64_f32_e32 v[0:1], v0
	v_mul_f64 v[8:9], v[8:9], s[0:1]
	v_mul_f64 v[0:1], v[0:1], s[0:1]
	v_cvt_f32_f64_e32 v8, v[8:9]
	v_cvt_f32_f64_e32 v9, v[0:1]
	v_accvgpr_read_b32 v1, a95              ;  Reload Reuse
	v_accvgpr_read_b32 v0, a97              ;  Reload Reuse
	v_mov_b32_e32 v12, v0
	v_mov_b32_e32 v4, s2
	;; [unrolled: 1-line block ×3, first 2 shown]
	v_mad_u64_u32 v[0:1], s[2:3], s4, v12, 0
	v_mov_b32_e32 v10, v1
	v_mad_u64_u32 v[10:11], s[2:3], s5, v12, v[10:11]
	v_mov_b32_e32 v1, v10
	v_lshl_add_u64 v[4:5], v[6:7], 3, v[4:5]
	v_lshl_add_u64 v[4:5], v[0:1], 3, v[4:5]
	global_store_dwordx2 v[4:5], v[8:9], off
	v_accvgpr_read_b32 v8, a32
	v_accvgpr_read_b32 v9, a33
	v_mul_f32_e32 v0, v9, v3
	v_fmac_f32_e32 v0, v8, v2
	v_cvt_f64_f32_e32 v[0:1], v0
	v_mul_f64 v[0:1], v[0:1], s[0:1]
	v_cvt_f32_f64_e32 v6, v[0:1]
	v_mul_f32_e32 v0, v9, v2
	v_fma_f32 v0, v8, v3, -v0
	v_cvt_f64_f32_e32 v[0:1], v0
	v_mul_f64 v[0:1], v[0:1], s[0:1]
	v_cvt_f32_f64_e32 v7, v[0:1]
	ds_read2_b64 v[0:3], v84 offset0:102 offset1:153
	v_mov_b32_e32 v8, 0x198
	v_mad_u64_u32 v[4:5], s[2:3], s4, v8, v[4:5]
	s_mul_i32 s2, s5, 0x198
	v_accvgpr_read_b32 v10, a26
	v_add_u32_e32 v5, s2, v5
	v_accvgpr_read_b32 v11, a27
	global_store_dwordx2 v[4:5], v[6:7], off
	s_waitcnt lgkmcnt(0)
	v_mul_f32_e32 v6, v11, v1
	v_fmac_f32_e32 v6, v10, v0
	v_mul_f32_e32 v0, v11, v0
	v_fma_f32 v0, v10, v1, -v0
	v_cvt_f64_f32_e32 v[6:7], v6
	v_cvt_f64_f32_e32 v[0:1], v0
	v_accvgpr_read_b32 v10, a24
	v_mul_f64 v[6:7], v[6:7], s[0:1]
	v_mul_f64 v[0:1], v[0:1], s[0:1]
	v_accvgpr_read_b32 v11, a25
	v_cvt_f32_f64_e32 v6, v[6:7]
	v_cvt_f32_f64_e32 v7, v[0:1]
	v_mul_f32_e32 v0, v11, v3
	v_fmac_f32_e32 v0, v10, v2
	v_mad_u64_u32 v[4:5], s[6:7], s4, v8, v[4:5]
	v_cvt_f64_f32_e32 v[0:1], v0
	v_add_u32_e32 v5, s2, v5
	v_mul_f64 v[0:1], v[0:1], s[0:1]
	global_store_dwordx2 v[4:5], v[6:7], off
	v_cvt_f32_f64_e32 v6, v[0:1]
	v_mul_f32_e32 v0, v11, v2
	v_fma_f32 v0, v10, v3, -v0
	v_cvt_f64_f32_e32 v[0:1], v0
	v_mul_f64 v[0:1], v[0:1], s[0:1]
	v_cvt_f32_f64_e32 v7, v[0:1]
	ds_read2_b64 v[0:3], v84 offset0:204 offset1:255
	v_mad_u64_u32 v[4:5], s[6:7], s4, v8, v[4:5]
	v_accvgpr_read_b32 v10, a30
	v_add_u32_e32 v5, s2, v5
	v_accvgpr_read_b32 v11, a31
	global_store_dwordx2 v[4:5], v[6:7], off
	s_waitcnt lgkmcnt(0)
	v_mul_f32_e32 v6, v11, v1
	v_fmac_f32_e32 v6, v10, v0
	v_mul_f32_e32 v0, v11, v0
	v_fma_f32 v0, v10, v1, -v0
	v_cvt_f64_f32_e32 v[6:7], v6
	v_cvt_f64_f32_e32 v[0:1], v0
	v_accvgpr_read_b32 v10, a28
	v_mul_f64 v[6:7], v[6:7], s[0:1]
	v_mul_f64 v[0:1], v[0:1], s[0:1]
	v_accvgpr_read_b32 v11, a29
	v_cvt_f32_f64_e32 v6, v[6:7]
	v_cvt_f32_f64_e32 v7, v[0:1]
	v_mul_f32_e32 v0, v11, v3
	v_fmac_f32_e32 v0, v10, v2
	v_mad_u64_u32 v[4:5], s[6:7], s4, v8, v[4:5]
	v_cvt_f64_f32_e32 v[0:1], v0
	v_add_u32_e32 v5, s2, v5
	v_mul_f64 v[0:1], v[0:1], s[0:1]
	global_store_dwordx2 v[4:5], v[6:7], off
	v_cvt_f32_f64_e32 v6, v[0:1]
	v_mul_f32_e32 v0, v11, v2
	v_fma_f32 v0, v10, v3, -v0
	v_cvt_f64_f32_e32 v[0:1], v0
	v_mul_f64 v[0:1], v[0:1], s[0:1]
	v_add_u32_e32 v9, 0x800, v84
	v_cvt_f32_f64_e32 v7, v[0:1]
	ds_read2_b64 v[0:3], v9 offset0:50 offset1:101
	v_mad_u64_u32 v[4:5], s[6:7], s4, v8, v[4:5]
	v_accvgpr_read_b32 v10, a22
	v_add_u32_e32 v5, s2, v5
	v_accvgpr_read_b32 v11, a23
	global_store_dwordx2 v[4:5], v[6:7], off
	s_waitcnt lgkmcnt(0)
	v_mul_f32_e32 v6, v11, v1
	v_fmac_f32_e32 v6, v10, v0
	v_mul_f32_e32 v0, v11, v0
	v_fma_f32 v0, v10, v1, -v0
	v_cvt_f64_f32_e32 v[6:7], v6
	v_cvt_f64_f32_e32 v[0:1], v0
	v_accvgpr_read_b32 v10, a14
	v_mul_f64 v[6:7], v[6:7], s[0:1]
	v_mul_f64 v[0:1], v[0:1], s[0:1]
	v_accvgpr_read_b32 v11, a15
	v_cvt_f32_f64_e32 v6, v[6:7]
	v_cvt_f32_f64_e32 v7, v[0:1]
	v_mul_f32_e32 v0, v11, v3
	v_fmac_f32_e32 v0, v10, v2
	v_mad_u64_u32 v[4:5], s[6:7], s4, v8, v[4:5]
	v_cvt_f64_f32_e32 v[0:1], v0
	v_add_u32_e32 v5, s2, v5
	v_mul_f64 v[0:1], v[0:1], s[0:1]
	global_store_dwordx2 v[4:5], v[6:7], off
	v_cvt_f32_f64_e32 v6, v[0:1]
	v_mul_f32_e32 v0, v11, v2
	v_fma_f32 v0, v10, v3, -v0
	v_cvt_f64_f32_e32 v[0:1], v0
	v_mul_f64 v[0:1], v[0:1], s[0:1]
	v_cvt_f32_f64_e32 v7, v[0:1]
	ds_read2_b64 v[0:3], v9 offset0:152 offset1:203
	v_mad_u64_u32 v[4:5], s[6:7], s4, v8, v[4:5]
	v_accvgpr_read_b32 v10, a20
	v_add_u32_e32 v5, s2, v5
	v_accvgpr_read_b32 v11, a21
	global_store_dwordx2 v[4:5], v[6:7], off
	s_waitcnt lgkmcnt(0)
	v_mul_f32_e32 v6, v11, v1
	v_fmac_f32_e32 v6, v10, v0
	v_mul_f32_e32 v0, v11, v0
	v_fma_f32 v0, v10, v1, -v0
	v_cvt_f64_f32_e32 v[6:7], v6
	v_cvt_f64_f32_e32 v[0:1], v0
	v_accvgpr_read_b32 v10, a16
	v_mul_f64 v[6:7], v[6:7], s[0:1]
	v_mul_f64 v[0:1], v[0:1], s[0:1]
	v_accvgpr_read_b32 v11, a17
	v_cvt_f32_f64_e32 v6, v[6:7]
	v_cvt_f32_f64_e32 v7, v[0:1]
	v_mul_f32_e32 v0, v11, v3
	v_fmac_f32_e32 v0, v10, v2
	v_mad_u64_u32 v[4:5], s[6:7], s4, v8, v[4:5]
	v_cvt_f64_f32_e32 v[0:1], v0
	v_add_u32_e32 v5, s2, v5
	v_mul_f64 v[0:1], v[0:1], s[0:1]
	global_store_dwordx2 v[4:5], v[6:7], off
	v_cvt_f32_f64_e32 v6, v[0:1]
	v_mul_f32_e32 v0, v11, v2
	v_fma_f32 v0, v10, v3, -v0
	v_cvt_f64_f32_e32 v[0:1], v0
	v_mul_f64 v[0:1], v[0:1], s[0:1]
	v_cvt_f32_f64_e32 v7, v[0:1]
	v_add_u32_e32 v0, 0xc00, v84
	ds_read2_b64 v[0:3], v0 offset0:126 offset1:177
	v_mad_u64_u32 v[4:5], s[6:7], s4, v8, v[4:5]
	v_accvgpr_read_b32 v10, a10
	v_add_u32_e32 v5, s2, v5
	v_accvgpr_read_b32 v11, a11
	global_store_dwordx2 v[4:5], v[6:7], off
	s_waitcnt lgkmcnt(0)
	v_mul_f32_e32 v6, v11, v1
	v_fmac_f32_e32 v6, v10, v0
	v_mul_f32_e32 v0, v11, v0
	v_fma_f32 v0, v10, v1, -v0
	v_cvt_f64_f32_e32 v[6:7], v6
	v_cvt_f64_f32_e32 v[0:1], v0
	v_accvgpr_read_b32 v10, a12
	v_mul_f64 v[6:7], v[6:7], s[0:1]
	v_mul_f64 v[0:1], v[0:1], s[0:1]
	v_accvgpr_read_b32 v11, a13
	v_cvt_f32_f64_e32 v6, v[6:7]
	v_cvt_f32_f64_e32 v7, v[0:1]
	v_mul_f32_e32 v0, v11, v3
	v_fmac_f32_e32 v0, v10, v2
	v_mad_u64_u32 v[4:5], s[6:7], s4, v8, v[4:5]
	v_cvt_f64_f32_e32 v[0:1], v0
	v_add_u32_e32 v5, s2, v5
	v_mul_f64 v[0:1], v[0:1], s[0:1]
	global_store_dwordx2 v[4:5], v[6:7], off
	v_cvt_f32_f64_e32 v6, v[0:1]
	v_mul_f32_e32 v0, v11, v2
	v_fma_f32 v0, v10, v3, -v0
	v_cvt_f64_f32_e32 v[0:1], v0
	v_mul_f64 v[0:1], v[0:1], s[0:1]
	v_add_u32_e32 v9, 0x1000, v84
	v_cvt_f32_f64_e32 v7, v[0:1]
	ds_read2_b64 v[0:3], v9 offset0:100 offset1:151
	v_mad_u64_u32 v[4:5], s[6:7], s4, v8, v[4:5]
	v_add_u32_e32 v5, s2, v5
	v_accvgpr_read_b32 v11, a9
	global_store_dwordx2 v[4:5], v[6:7], off
	v_accvgpr_read_b32 v10, a8
	s_waitcnt lgkmcnt(0)
	v_mul_f32_e32 v6, v11, v1
	v_fmac_f32_e32 v6, v10, v0
	v_mul_f32_e32 v0, v11, v0
	v_fma_f32 v0, v10, v1, -v0
	v_cvt_f64_f32_e32 v[6:7], v6
	v_cvt_f64_f32_e32 v[0:1], v0
	v_mul_f64 v[6:7], v[6:7], s[0:1]
	v_mul_f64 v[0:1], v[0:1], s[0:1]
	v_accvgpr_read_b32 v11, a7
	v_cvt_f32_f64_e32 v6, v[6:7]
	v_cvt_f32_f64_e32 v7, v[0:1]
	v_accvgpr_read_b32 v10, a6
	v_mul_f32_e32 v0, v11, v3
	v_fmac_f32_e32 v0, v10, v2
	v_mad_u64_u32 v[4:5], s[6:7], s4, v8, v[4:5]
	v_cvt_f64_f32_e32 v[0:1], v0
	v_add_u32_e32 v5, s2, v5
	v_mul_f64 v[0:1], v[0:1], s[0:1]
	global_store_dwordx2 v[4:5], v[6:7], off
	v_cvt_f32_f64_e32 v6, v[0:1]
	v_mul_f32_e32 v0, v11, v2
	v_fma_f32 v0, v10, v3, -v0
	v_cvt_f64_f32_e32 v[0:1], v0
	v_mul_f64 v[0:1], v[0:1], s[0:1]
	v_cvt_f32_f64_e32 v7, v[0:1]
	ds_read2_b64 v[0:3], v9 offset0:202 offset1:253
	v_mad_u64_u32 v[4:5], s[6:7], s4, v8, v[4:5]
	v_add_u32_e32 v5, s2, v5
	v_accvgpr_read_b32 v11, a5
	global_store_dwordx2 v[4:5], v[6:7], off
	v_accvgpr_read_b32 v10, a4
	s_waitcnt lgkmcnt(0)
	v_mul_f32_e32 v6, v11, v1
	v_fmac_f32_e32 v6, v10, v0
	v_mul_f32_e32 v0, v11, v0
	v_fma_f32 v0, v10, v1, -v0
	v_cvt_f64_f32_e32 v[6:7], v6
	v_cvt_f64_f32_e32 v[0:1], v0
	v_mul_f64 v[6:7], v[6:7], s[0:1]
	v_mul_f64 v[0:1], v[0:1], s[0:1]
	v_cvt_f32_f64_e32 v6, v[6:7]
	v_cvt_f32_f64_e32 v7, v[0:1]
	v_mad_u64_u32 v[0:1], s[6:7], s4, v8, v[4:5]
	v_add_u32_e32 v1, s2, v1
	global_store_dwordx2 v[0:1], v[6:7], off
	v_accvgpr_read_b32 v7, a3
	v_accvgpr_read_b32 v6, a2
	v_mul_f32_e32 v4, v7, v3
	v_fmac_f32_e32 v4, v6, v2
	v_mul_f32_e32 v2, v7, v2
	v_fma_f32 v2, v6, v3, -v2
	v_cvt_f64_f32_e32 v[4:5], v4
	v_cvt_f64_f32_e32 v[2:3], v2
	v_mul_f64 v[4:5], v[4:5], s[0:1]
	v_mul_f64 v[2:3], v[2:3], s[0:1]
	v_cvt_f32_f64_e32 v4, v[4:5]
	v_cvt_f32_f64_e32 v5, v[2:3]
	ds_read_b64 v[2:3], v84 offset:6528
	v_mad_u64_u32 v[0:1], s[6:7], s4, v8, v[0:1]
	v_add_u32_e32 v1, s2, v1
	v_accvgpr_read_b32 v7, a1
	global_store_dwordx2 v[0:1], v[4:5], off
	v_accvgpr_read_b32 v6, a0
	s_waitcnt lgkmcnt(0)
	v_mul_f32_e32 v4, v7, v3
	v_fmac_f32_e32 v4, v6, v2
	v_mul_f32_e32 v2, v7, v2
	v_fma_f32 v2, v6, v3, -v2
	v_cvt_f64_f32_e32 v[4:5], v4
	v_cvt_f64_f32_e32 v[2:3], v2
	v_mul_f64 v[4:5], v[4:5], s[0:1]
	v_mul_f64 v[2:3], v[2:3], s[0:1]
	v_mad_u64_u32 v[0:1], s[0:1], s4, v8, v[0:1]
	v_cvt_f32_f64_e32 v4, v[4:5]
	v_cvt_f32_f64_e32 v5, v[2:3]
	v_add_u32_e32 v1, s2, v1
	global_store_dwordx2 v[0:1], v[4:5], off
.LBB0_10:
	s_endpgm
	.section	.rodata,"a",@progbits
	.p2align	6, 0x0
	.amdhsa_kernel bluestein_single_fwd_len867_dim1_sp_op_CI_CI
		.amdhsa_group_segment_fixed_size 6936
		.amdhsa_private_segment_fixed_size 0
		.amdhsa_kernarg_size 104
		.amdhsa_user_sgpr_count 2
		.amdhsa_user_sgpr_dispatch_ptr 0
		.amdhsa_user_sgpr_queue_ptr 0
		.amdhsa_user_sgpr_kernarg_segment_ptr 1
		.amdhsa_user_sgpr_dispatch_id 0
		.amdhsa_user_sgpr_kernarg_preload_length 0
		.amdhsa_user_sgpr_kernarg_preload_offset 0
		.amdhsa_user_sgpr_private_segment_size 0
		.amdhsa_uses_dynamic_stack 0
		.amdhsa_enable_private_segment 0
		.amdhsa_system_sgpr_workgroup_id_x 1
		.amdhsa_system_sgpr_workgroup_id_y 0
		.amdhsa_system_sgpr_workgroup_id_z 0
		.amdhsa_system_sgpr_workgroup_info 0
		.amdhsa_system_vgpr_workitem_id 0
		.amdhsa_next_free_vgpr 390
		.amdhsa_next_free_sgpr 70
		.amdhsa_accum_offset 256
		.amdhsa_reserve_vcc 1
		.amdhsa_float_round_mode_32 0
		.amdhsa_float_round_mode_16_64 0
		.amdhsa_float_denorm_mode_32 3
		.amdhsa_float_denorm_mode_16_64 3
		.amdhsa_dx10_clamp 1
		.amdhsa_ieee_mode 1
		.amdhsa_fp16_overflow 0
		.amdhsa_tg_split 0
		.amdhsa_exception_fp_ieee_invalid_op 0
		.amdhsa_exception_fp_denorm_src 0
		.amdhsa_exception_fp_ieee_div_zero 0
		.amdhsa_exception_fp_ieee_overflow 0
		.amdhsa_exception_fp_ieee_underflow 0
		.amdhsa_exception_fp_ieee_inexact 0
		.amdhsa_exception_int_div_zero 0
	.end_amdhsa_kernel
	.text
.Lfunc_end0:
	.size	bluestein_single_fwd_len867_dim1_sp_op_CI_CI, .Lfunc_end0-bluestein_single_fwd_len867_dim1_sp_op_CI_CI
                                        ; -- End function
	.section	.AMDGPU.csdata,"",@progbits
; Kernel info:
; codeLenInByte = 26296
; NumSgprs: 76
; NumVgprs: 256
; NumAgprs: 134
; TotalNumVgprs: 390
; ScratchSize: 0
; MemoryBound: 0
; FloatMode: 240
; IeeeMode: 1
; LDSByteSize: 6936 bytes/workgroup (compile time only)
; SGPRBlocks: 9
; VGPRBlocks: 48
; NumSGPRsForWavesPerEU: 76
; NumVGPRsForWavesPerEU: 390
; AccumOffset: 256
; Occupancy: 1
; WaveLimiterHint : 1
; COMPUTE_PGM_RSRC2:SCRATCH_EN: 0
; COMPUTE_PGM_RSRC2:USER_SGPR: 2
; COMPUTE_PGM_RSRC2:TRAP_HANDLER: 0
; COMPUTE_PGM_RSRC2:TGID_X_EN: 1
; COMPUTE_PGM_RSRC2:TGID_Y_EN: 0
; COMPUTE_PGM_RSRC2:TGID_Z_EN: 0
; COMPUTE_PGM_RSRC2:TIDIG_COMP_CNT: 0
; COMPUTE_PGM_RSRC3_GFX90A:ACCUM_OFFSET: 63
; COMPUTE_PGM_RSRC3_GFX90A:TG_SPLIT: 0
	.text
	.p2alignl 6, 3212836864
	.fill 256, 4, 3212836864
	.type	__hip_cuid_fa19c4f9a3b09693,@object ; @__hip_cuid_fa19c4f9a3b09693
	.section	.bss,"aw",@nobits
	.globl	__hip_cuid_fa19c4f9a3b09693
__hip_cuid_fa19c4f9a3b09693:
	.byte	0                               ; 0x0
	.size	__hip_cuid_fa19c4f9a3b09693, 1

	.ident	"AMD clang version 19.0.0git (https://github.com/RadeonOpenCompute/llvm-project roc-6.4.0 25133 c7fe45cf4b819c5991fe208aaa96edf142730f1d)"
	.section	".note.GNU-stack","",@progbits
	.addrsig
	.addrsig_sym __hip_cuid_fa19c4f9a3b09693
	.amdgpu_metadata
---
amdhsa.kernels:
  - .agpr_count:     134
    .args:
      - .actual_access:  read_only
        .address_space:  global
        .offset:         0
        .size:           8
        .value_kind:     global_buffer
      - .actual_access:  read_only
        .address_space:  global
        .offset:         8
        .size:           8
        .value_kind:     global_buffer
      - .actual_access:  read_only
        .address_space:  global
        .offset:         16
        .size:           8
        .value_kind:     global_buffer
      - .actual_access:  read_only
        .address_space:  global
        .offset:         24
        .size:           8
        .value_kind:     global_buffer
      - .actual_access:  read_only
        .address_space:  global
        .offset:         32
        .size:           8
        .value_kind:     global_buffer
      - .offset:         40
        .size:           8
        .value_kind:     by_value
      - .address_space:  global
        .offset:         48
        .size:           8
        .value_kind:     global_buffer
      - .address_space:  global
        .offset:         56
        .size:           8
        .value_kind:     global_buffer
      - .address_space:  global
        .offset:         64
        .size:           8
        .value_kind:     global_buffer
      - .address_space:  global
        .offset:         72
        .size:           8
        .value_kind:     global_buffer
      - .offset:         80
        .size:           4
        .value_kind:     by_value
      - .address_space:  global
        .offset:         88
        .size:           8
        .value_kind:     global_buffer
      - .address_space:  global
        .offset:         96
        .size:           8
        .value_kind:     global_buffer
    .group_segment_fixed_size: 6936
    .kernarg_segment_align: 8
    .kernarg_segment_size: 104
    .language:       OpenCL C
    .language_version:
      - 2
      - 0
    .max_flat_workgroup_size: 51
    .name:           bluestein_single_fwd_len867_dim1_sp_op_CI_CI
    .private_segment_fixed_size: 0
    .sgpr_count:     76
    .sgpr_spill_count: 0
    .symbol:         bluestein_single_fwd_len867_dim1_sp_op_CI_CI.kd
    .uniform_work_group_size: 1
    .uses_dynamic_stack: false
    .vgpr_count:     390
    .vgpr_spill_count: 2
    .wavefront_size: 64
amdhsa.target:   amdgcn-amd-amdhsa--gfx950
amdhsa.version:
  - 1
  - 2
...

	.end_amdgpu_metadata
